;; amdgpu-corpus repo=ROCm/rocFFT kind=compiled arch=gfx906 opt=O3
	.text
	.amdgcn_target "amdgcn-amd-amdhsa--gfx906"
	.amdhsa_code_object_version 6
	.protected	bluestein_single_back_len1575_dim1_half_op_CI_CI ; -- Begin function bluestein_single_back_len1575_dim1_half_op_CI_CI
	.globl	bluestein_single_back_len1575_dim1_half_op_CI_CI
	.p2align	8
	.type	bluestein_single_back_len1575_dim1_half_op_CI_CI,@function
bluestein_single_back_len1575_dim1_half_op_CI_CI: ; @bluestein_single_back_len1575_dim1_half_op_CI_CI
; %bb.0:
	s_load_dwordx4 s[12:15], s[4:5], 0x28
	v_mul_u32_u24_e32 v1, 0x411, v0
	v_add_u32_sdwa v58, s6, v1 dst_sel:DWORD dst_unused:UNUSED_PAD src0_sel:DWORD src1_sel:WORD_1
	v_mov_b32_e32 v59, 0
	s_waitcnt lgkmcnt(0)
	v_cmp_gt_u64_e32 vcc, s[12:13], v[58:59]
	s_and_saveexec_b64 s[0:1], vcc
	s_cbranch_execz .LBB0_31
; %bb.1:
	s_load_dwordx4 s[0:3], s[4:5], 0x18
	s_load_dwordx2 s[16:17], s[4:5], 0x0
	v_mov_b32_e32 v2, 63
	v_mul_lo_u16_sdwa v1, v1, v2 dst_sel:DWORD dst_unused:UNUSED_PAD src0_sel:WORD_1 src1_sel:DWORD
	v_sub_u16_e32 v132, v0, v1
	s_waitcnt lgkmcnt(0)
	s_load_dwordx4 s[8:11], s[0:1], 0x0
	v_lshlrev_b32_e32 v109, 2, v132
	global_load_dword v134, v109, s[16:17]
	global_load_dword v133, v109, s[16:17] offset:2100
	v_add_co_u32_e64 v56, s[6:7], s16, v109
	s_waitcnt lgkmcnt(0)
	v_mad_u64_u32 v[0:1], s[0:1], s10, v58, 0
	v_mad_u64_u32 v[2:3], s[0:1], s8, v132, 0
	v_add_u32_e32 v24, 0xc00, v109
	v_add_u32_e32 v25, 0x1400, v109
	v_mad_u64_u32 v[4:5], s[0:1], s11, v58, v[1:2]
	v_add_u32_e32 v26, 0x400, v109
	v_mad_u64_u32 v[5:6], s[0:1], s9, v132, v[3:4]
	v_mov_b32_e32 v1, v4
	v_lshlrev_b64 v[0:1], 2, v[0:1]
	v_mov_b32_e32 v6, s15
	v_mov_b32_e32 v3, v5
	v_add_co_u32_e32 v4, vcc, s14, v0
	v_addc_co_u32_e32 v5, vcc, v6, v1, vcc
	v_lshlrev_b64 v[0:1], 2, v[2:3]
	s_mul_i32 s0, s9, 0x20d
	v_add_co_u32_e32 v0, vcc, v4, v0
	s_mul_hi_u32 s1, s8, 0x20d
	v_addc_co_u32_e32 v1, vcc, v5, v1, vcc
	s_add_i32 s1, s1, s0
	s_mul_i32 s0, s8, 0x20d
	global_load_dword v4, v[0:1], off
	s_lshl_b64 s[14:15], s[0:1], 2
	v_mov_b32_e32 v6, s15
	v_add_co_u32_e32 v0, vcc, s14, v0
	v_addc_co_u32_e32 v1, vcc, v1, v6, vcc
	global_load_dword v5, v[0:1], off
	v_mov_b32_e32 v2, s17
	v_addc_co_u32_e64 v57, vcc, 0, v2, s[6:7]
	v_add_co_u32_e32 v2, vcc, s14, v0
	v_addc_co_u32_e32 v3, vcc, v1, v6, vcc
	global_load_dword v7, v[2:3], off
	s_movk_i32 s0, 0x1000
	v_add_co_u32_e32 v0, vcc, s0, v56
	v_addc_co_u32_e32 v1, vcc, 0, v57, vcc
	s_mul_hi_u32 s1, s8, 0xfffffc25
	global_load_dword v131, v[0:1], off offset:104
	s_mul_i32 s0, s9, 0xfffffc25
	s_sub_i32 s1, s1, s8
	s_add_i32 s1, s1, s0
	s_mul_i32 s0, s8, 0xfffffc25
	s_lshl_b64 s[18:19], s[0:1], 2
	v_mov_b32_e32 v8, s19
	v_add_co_u32_e32 v2, vcc, s18, v2
	v_addc_co_u32_e32 v3, vcc, v3, v8, vcc
	global_load_dword v9, v[2:3], off
	global_load_dword v130, v109, s[16:17] offset:252
	v_add_co_u32_e32 v2, vcc, s14, v2
	v_addc_co_u32_e32 v3, vcc, v3, v6, vcc
	global_load_dword v10, v[2:3], off
	global_load_dword v129, v109, s[16:17] offset:2352
	v_add_co_u32_e32 v2, vcc, s14, v2
	v_addc_co_u32_e32 v3, vcc, v3, v6, vcc
	global_load_dword v11, v[2:3], off
	global_load_dword v128, v[0:1], off offset:356
	v_add_co_u32_e32 v2, vcc, s18, v2
	v_addc_co_u32_e32 v3, vcc, v3, v8, vcc
	global_load_dword v12, v[2:3], off
	s_load_dwordx2 s[12:13], s[4:5], 0x38
	s_load_dwordx4 s[8:11], s[2:3], 0x0
	global_load_dword v127, v109, s[16:17] offset:504
	global_load_dword v126, v109, s[16:17] offset:2604
	v_add_co_u32_e32 v2, vcc, s14, v2
	v_addc_co_u32_e32 v3, vcc, v3, v6, vcc
	global_load_dword v13, v[2:3], off
	v_add_co_u32_e32 v2, vcc, s14, v2
	v_addc_co_u32_e32 v3, vcc, v3, v6, vcc
	global_load_dword v14, v[2:3], off
	global_load_dword v125, v[0:1], off offset:608
	global_load_dword v123, v109, s[16:17] offset:756
	global_load_dword v120, v109, s[16:17] offset:1008
	;; [unrolled: 1-line block ×5, first 2 shown]
	v_add_co_u32_e32 v2, vcc, s18, v2
	v_addc_co_u32_e32 v3, vcc, v3, v8, vcc
	global_load_dword v124, v109, s[16:17] offset:2856
	global_load_dword v121, v109, s[16:17] offset:3108
	;; [unrolled: 1-line block ×5, first 2 shown]
	v_cmp_gt_u16_e64 s[0:1], 21, v132
	s_waitcnt vmcnt(25)
	v_lshrrev_b32_e32 v15, 16, v4
	v_mul_f16_sdwa v16, v134, v15 dst_sel:DWORD dst_unused:UNUSED_PAD src0_sel:WORD_1 src1_sel:DWORD
	v_fma_f16 v16, v134, v4, v16
	v_mul_f16_sdwa v4, v134, v4 dst_sel:DWORD dst_unused:UNUSED_PAD src0_sel:WORD_1 src1_sel:DWORD
	v_fma_f16 v4, v134, v15, -v4
	v_pack_b32_f16 v4, v16, v4
	s_waitcnt vmcnt(24)
	v_lshrrev_b32_e32 v15, 16, v5
	v_mul_f16_sdwa v16, v133, v15 dst_sel:DWORD dst_unused:UNUSED_PAD src0_sel:WORD_1 src1_sel:DWORD
	v_fma_f16 v16, v133, v5, v16
	v_mul_f16_sdwa v5, v133, v5 dst_sel:DWORD dst_unused:UNUSED_PAD src0_sel:WORD_1 src1_sel:DWORD
	v_fma_f16 v5, v133, v15, -v5
	global_load_dword v15, v[2:3], off
	v_pack_b32_f16 v5, v16, v5
	ds_write_b32 v109, v5 offset:2100
	s_waitcnt vmcnt(24)
	v_lshrrev_b32_e32 v5, 16, v7
	global_load_dword v122, v[0:1], off offset:860
	global_load_dword v119, v[0:1], off offset:1112
	;; [unrolled: 1-line block ×5, first 2 shown]
	v_add_co_u32_e32 v2, vcc, s14, v2
	v_addc_co_u32_e32 v3, vcc, v3, v6, vcc
	s_waitcnt vmcnt(28)
	v_mul_f16_sdwa v16, v131, v5 dst_sel:DWORD dst_unused:UNUSED_PAD src0_sel:WORD_1 src1_sel:DWORD
	v_fma_f16 v16, v131, v7, v16
	v_mul_f16_sdwa v7, v131, v7 dst_sel:DWORD dst_unused:UNUSED_PAD src0_sel:WORD_1 src1_sel:DWORD
	v_fma_f16 v5, v131, v5, -v7
	v_pack_b32_f16 v5, v16, v5
	ds_write_b32 v109, v5 offset:4200
	s_waitcnt vmcnt(27)
	v_lshrrev_b32_e32 v5, 16, v9
	s_waitcnt vmcnt(26)
	v_mul_f16_sdwa v7, v130, v5 dst_sel:DWORD dst_unused:UNUSED_PAD src0_sel:WORD_1 src1_sel:DWORD
	v_fma_f16 v7, v130, v9, v7
	v_mul_f16_sdwa v9, v130, v9 dst_sel:DWORD dst_unused:UNUSED_PAD src0_sel:WORD_1 src1_sel:DWORD
	v_fma_f16 v5, v130, v5, -v9
	v_pack_b32_f16 v5, v7, v5
	ds_write2_b32 v109, v4, v5 offset1:63
	s_waitcnt vmcnt(25)
	v_lshrrev_b32_e32 v4, 16, v10
	s_waitcnt vmcnt(24)
	v_mul_f16_sdwa v5, v129, v4 dst_sel:DWORD dst_unused:UNUSED_PAD src0_sel:WORD_1 src1_sel:DWORD
	global_load_dword v7, v[2:3], off
	v_mul_f16_sdwa v9, v129, v10 dst_sel:DWORD dst_unused:UNUSED_PAD src0_sel:WORD_1 src1_sel:DWORD
	v_fma_f16 v5, v129, v10, v5
	v_fma_f16 v4, v129, v4, -v9
	v_add_co_u32_e32 v2, vcc, s14, v2
	v_pack_b32_f16 v5, v5, v4
	s_waitcnt vmcnt(24)
	v_lshrrev_b32_e32 v4, 16, v11
	s_waitcnt vmcnt(23)
	v_mul_f16_sdwa v10, v128, v11 dst_sel:DWORD dst_unused:UNUSED_PAD src0_sel:WORD_1 src1_sel:DWORD
	v_addc_co_u32_e32 v3, vcc, v3, v6, vcc
	v_mul_f16_sdwa v9, v128, v4 dst_sel:DWORD dst_unused:UNUSED_PAD src0_sel:WORD_1 src1_sel:DWORD
	v_fma_f16 v4, v128, v4, -v10
	global_load_dword v10, v[2:3], off
	v_fma_f16 v9, v128, v11, v9
	v_pack_b32_f16 v9, v9, v4
	s_waitcnt vmcnt(23)
	v_lshrrev_b32_e32 v4, 16, v12
	s_waitcnt vmcnt(22)
	v_mul_f16_sdwa v11, v127, v4 dst_sel:DWORD dst_unused:UNUSED_PAD src0_sel:WORD_1 src1_sel:DWORD
	v_fma_f16 v11, v127, v12, v11
	v_mul_f16_sdwa v12, v127, v12 dst_sel:DWORD dst_unused:UNUSED_PAD src0_sel:WORD_1 src1_sel:DWORD
	v_fma_f16 v4, v127, v4, -v12
	v_pack_b32_f16 v11, v11, v4
	s_waitcnt vmcnt(20)
	v_lshrrev_b32_e32 v4, 16, v13
	v_mul_f16_sdwa v12, v126, v4 dst_sel:DWORD dst_unused:UNUSED_PAD src0_sel:WORD_1 src1_sel:DWORD
	v_add_co_u32_e32 v2, vcc, s18, v2
	v_fma_f16 v12, v126, v13, v12
	v_mul_f16_sdwa v13, v126, v13 dst_sel:DWORD dst_unused:UNUSED_PAD src0_sel:WORD_1 src1_sel:DWORD
	v_addc_co_u32_e32 v3, vcc, v3, v8, vcc
	v_fma_f16 v4, v126, v4, -v13
	global_load_dword v13, v[2:3], off
	v_add_co_u32_e32 v2, vcc, s14, v2
	v_addc_co_u32_e32 v3, vcc, v3, v6, vcc
	global_load_dword v16, v[2:3], off
	v_pack_b32_f16 v12, v12, v4
	v_add_u32_e32 v4, 0x800, v109
	ds_write2_b32 v4, v5, v12 offset0:76 offset1:139
	s_waitcnt vmcnt(21)
	v_lshrrev_b32_e32 v5, 16, v14
	s_waitcnt vmcnt(20)
	v_mul_f16_sdwa v12, v125, v5 dst_sel:DWORD dst_unused:UNUSED_PAD src0_sel:WORD_1 src1_sel:DWORD
	v_add_co_u32_e32 v2, vcc, s14, v2
	v_fma_f16 v12, v125, v14, v12
	v_mul_f16_sdwa v14, v125, v14 dst_sel:DWORD dst_unused:UNUSED_PAD src0_sel:WORD_1 src1_sel:DWORD
	v_addc_co_u32_e32 v3, vcc, v3, v6, vcc
	v_fma_f16 v5, v125, v5, -v14
	global_load_dword v14, v[2:3], off
	v_add_co_u32_e32 v2, vcc, s18, v2
	v_addc_co_u32_e32 v3, vcc, v3, v8, vcc
	v_pack_b32_f16 v12, v12, v5
	v_add_u32_e32 v5, 0x1000, v109
	global_load_dword v17, v[2:3], off
	ds_write2_b32 v5, v9, v12 offset0:89 offset1:152
	s_waitcnt vmcnt(11)
	v_lshrrev_b32_e32 v9, 16, v15
	v_mul_f16_sdwa v12, v123, v9 dst_sel:DWORD dst_unused:UNUSED_PAD src0_sel:WORD_1 src1_sel:DWORD
	v_add_co_u32_e32 v2, vcc, s14, v2
	v_fma_f16 v12, v123, v15, v12
	v_mul_f16_sdwa v15, v123, v15 dst_sel:DWORD dst_unused:UNUSED_PAD src0_sel:WORD_1 src1_sel:DWORD
	v_addc_co_u32_e32 v3, vcc, v3, v6, vcc
	v_fma_f16 v9, v123, v9, -v15
	global_load_dword v15, v[2:3], off
	v_add_co_u32_e32 v2, vcc, s14, v2
	v_addc_co_u32_e32 v3, vcc, v3, v6, vcc
	v_pack_b32_f16 v9, v12, v9
	global_load_dword v12, v[2:3], off
	v_add_co_u32_e32 v2, vcc, s18, v2
	v_addc_co_u32_e32 v3, vcc, v3, v8, vcc
	ds_write2_b32 v109, v11, v9 offset0:126 offset1:189
	global_load_dword v9, v[2:3], off
	v_add_co_u32_e32 v2, vcc, s14, v2
	v_addc_co_u32_e32 v3, vcc, v3, v6, vcc
	global_load_dword v18, v[2:3], off
	v_add_co_u32_e32 v2, vcc, s14, v2
	v_addc_co_u32_e32 v3, vcc, v3, v6, vcc
	global_load_dword v20, v[2:3], off
	v_add_co_u32_e32 v2, vcc, s18, v2
	v_addc_co_u32_e32 v3, vcc, v3, v8, vcc
	global_load_dword v8, v[2:3], off
	s_waitcnt vmcnt(11)
	v_lshrrev_b32_e32 v11, 16, v7
	v_add_co_u32_e32 v2, vcc, s14, v2
	v_mul_f16_sdwa v19, v124, v11 dst_sel:DWORD dst_unused:UNUSED_PAD src0_sel:WORD_1 src1_sel:DWORD
	v_addc_co_u32_e32 v3, vcc, v3, v6, vcc
	v_fma_f16 v19, v124, v7, v19
	v_mul_f16_sdwa v7, v124, v7 dst_sel:DWORD dst_unused:UNUSED_PAD src0_sel:WORD_1 src1_sel:DWORD
	global_load_dword v21, v[2:3], off
	v_fma_f16 v7, v124, v11, -v7
	s_waitcnt vmcnt(11)
	v_lshrrev_b32_e32 v11, 16, v10
	v_pack_b32_f16 v7, v19, v7
	v_mul_f16_sdwa v19, v122, v11 dst_sel:DWORD dst_unused:UNUSED_PAD src0_sel:WORD_1 src1_sel:DWORD
	v_add_co_u32_e32 v2, vcc, s14, v2
	v_fma_f16 v19, v122, v10, v19
	v_mul_f16_sdwa v10, v122, v10 dst_sel:DWORD dst_unused:UNUSED_PAD src0_sel:WORD_1 src1_sel:DWORD
	v_addc_co_u32_e32 v3, vcc, v3, v6, vcc
	v_fma_f16 v10, v122, v11, -v10
	global_load_dword v11, v[2:3], off
	s_waitcnt vmcnt(11)
	v_lshrrev_b32_e32 v6, 16, v13
	v_pack_b32_f16 v10, v19, v10
	v_mul_f16_sdwa v19, v120, v6 dst_sel:DWORD dst_unused:UNUSED_PAD src0_sel:WORD_1 src1_sel:DWORD
	v_fma_f16 v19, v120, v13, v19
	v_mul_f16_sdwa v13, v120, v13 dst_sel:DWORD dst_unused:UNUSED_PAD src0_sel:WORD_1 src1_sel:DWORD
	v_fma_f16 v6, v120, v6, -v13
	v_pack_b32_f16 v13, v19, v6
	s_waitcnt vmcnt(10)
	v_lshrrev_b32_e32 v6, 16, v16
	v_mul_f16_sdwa v19, v121, v6 dst_sel:DWORD dst_unused:UNUSED_PAD src0_sel:WORD_1 src1_sel:DWORD
	v_fma_f16 v19, v121, v16, v19
	v_mul_f16_sdwa v16, v121, v16 dst_sel:DWORD dst_unused:UNUSED_PAD src0_sel:WORD_1 src1_sel:DWORD
	v_fma_f16 v6, v121, v6, -v16
	v_pack_b32_f16 v6, v19, v6
	v_add_u32_e32 v16, 0xa00, v109
	ds_write2_b32 v16, v7, v6 offset0:74 offset1:137
	s_waitcnt vmcnt(9)
	v_lshrrev_b32_e32 v6, 16, v14
	v_mul_f16_sdwa v7, v119, v6 dst_sel:DWORD dst_unused:UNUSED_PAD src0_sel:WORD_1 src1_sel:DWORD
	v_fma_f16 v7, v119, v14, v7
	v_mul_f16_sdwa v14, v119, v14 dst_sel:DWORD dst_unused:UNUSED_PAD src0_sel:WORD_1 src1_sel:DWORD
	v_fma_f16 v6, v119, v6, -v14
	v_pack_b32_f16 v6, v7, v6
	v_add_u32_e32 v7, 0x1200, v109
	ds_write2_b32 v7, v10, v6 offset0:87 offset1:150
	s_waitcnt vmcnt(8)
	v_lshrrev_b32_e32 v6, 16, v17
	v_mul_f16_sdwa v7, v118, v6 dst_sel:DWORD dst_unused:UNUSED_PAD src0_sel:WORD_1 src1_sel:DWORD
	v_mul_f16_sdwa v10, v118, v17 dst_sel:DWORD dst_unused:UNUSED_PAD src0_sel:WORD_1 src1_sel:DWORD
	v_fma_f16 v7, v118, v17, v7
	v_fma_f16 v6, v118, v6, -v10
	v_pack_b32_f16 v7, v7, v6
	v_add_u32_e32 v6, 0x200, v109
	ds_write2_b32 v6, v13, v7 offset0:124 offset1:187
	s_waitcnt vmcnt(7)
	v_lshrrev_b32_e32 v7, 16, v15
	v_mul_f16_sdwa v10, v117, v7 dst_sel:DWORD dst_unused:UNUSED_PAD src0_sel:WORD_1 src1_sel:DWORD
	v_mul_f16_sdwa v13, v117, v15 dst_sel:DWORD dst_unused:UNUSED_PAD src0_sel:WORD_1 src1_sel:DWORD
	v_fma_f16 v10, v117, v15, v10
	v_fma_f16 v7, v117, v7, -v13
	v_pack_b32_f16 v7, v10, v7
	s_waitcnt vmcnt(6)
	v_lshrrev_b32_e32 v10, 16, v12
	v_mul_f16_sdwa v13, v116, v10 dst_sel:DWORD dst_unused:UNUSED_PAD src0_sel:WORD_1 src1_sel:DWORD
	v_fma_f16 v13, v116, v12, v13
	v_mul_f16_sdwa v12, v116, v12 dst_sel:DWORD dst_unused:UNUSED_PAD src0_sel:WORD_1 src1_sel:DWORD
	v_fma_f16 v10, v116, v10, -v12
	v_pack_b32_f16 v10, v13, v10
	s_waitcnt vmcnt(5)
	v_lshrrev_b32_e32 v12, 16, v9
	v_mul_f16_sdwa v13, v115, v12 dst_sel:DWORD dst_unused:UNUSED_PAD src0_sel:WORD_1 src1_sel:DWORD
	v_fma_f16 v13, v115, v9, v13
	v_mul_f16_sdwa v9, v115, v9 dst_sel:DWORD dst_unused:UNUSED_PAD src0_sel:WORD_1 src1_sel:DWORD
	v_fma_f16 v9, v115, v12, -v9
	s_waitcnt vmcnt(4)
	v_lshrrev_b32_e32 v12, 16, v18
	v_pack_b32_f16 v9, v13, v9
	v_mul_f16_sdwa v13, v114, v12 dst_sel:DWORD dst_unused:UNUSED_PAD src0_sel:WORD_1 src1_sel:DWORD
	v_mul_f16_sdwa v14, v114, v18 dst_sel:DWORD dst_unused:UNUSED_PAD src0_sel:WORD_1 src1_sel:DWORD
	v_fma_f16 v13, v114, v18, v13
	v_fma_f16 v12, v114, v12, -v14
	v_pack_b32_f16 v12, v13, v12
	ds_write2_b32 v24, v7, v12 offset0:72 offset1:135
	s_waitcnt vmcnt(3)
	v_lshrrev_b32_e32 v7, 16, v20
	v_mul_f16_sdwa v12, v113, v7 dst_sel:DWORD dst_unused:UNUSED_PAD src0_sel:WORD_1 src1_sel:DWORD
	v_mul_f16_sdwa v13, v113, v20 dst_sel:DWORD dst_unused:UNUSED_PAD src0_sel:WORD_1 src1_sel:DWORD
	v_fma_f16 v12, v113, v20, v12
	v_fma_f16 v7, v113, v7, -v13
	v_pack_b32_f16 v7, v12, v7
	ds_write2_b32 v25, v10, v7 offset0:85 offset1:148
	s_waitcnt vmcnt(2)
	v_lshrrev_b32_e32 v7, 16, v8
	v_mul_f16_sdwa v10, v112, v7 dst_sel:DWORD dst_unused:UNUSED_PAD src0_sel:WORD_1 src1_sel:DWORD
	v_fma_f16 v10, v112, v8, v10
	v_mul_f16_sdwa v8, v112, v8 dst_sel:DWORD dst_unused:UNUSED_PAD src0_sel:WORD_1 src1_sel:DWORD
	v_fma_f16 v7, v112, v7, -v8
	v_pack_b32_f16 v7, v10, v7
	ds_write2_b32 v26, v9, v7 offset0:122 offset1:185
	s_waitcnt vmcnt(1)
	v_lshrrev_b32_e32 v7, 16, v21
	v_mul_f16_sdwa v8, v111, v7 dst_sel:DWORD dst_unused:UNUSED_PAD src0_sel:WORD_1 src1_sel:DWORD
	v_mul_f16_sdwa v9, v111, v21 dst_sel:DWORD dst_unused:UNUSED_PAD src0_sel:WORD_1 src1_sel:DWORD
	v_fma_f16 v8, v111, v21, v8
	v_fma_f16 v7, v111, v7, -v9
	v_pack_b32_f16 v7, v8, v7
	ds_write_b32 v109, v7 offset:3864
	s_waitcnt vmcnt(0)
	v_lshrrev_b32_e32 v7, 16, v11
	v_mul_f16_sdwa v8, v110, v7 dst_sel:DWORD dst_unused:UNUSED_PAD src0_sel:WORD_1 src1_sel:DWORD
	v_mul_f16_sdwa v9, v110, v11 dst_sel:DWORD dst_unused:UNUSED_PAD src0_sel:WORD_1 src1_sel:DWORD
	v_fma_f16 v8, v110, v11, v8
	v_fma_f16 v7, v110, v7, -v9
	v_pack_b32_f16 v7, v8, v7
	ds_write_b32 v109, v7 offset:5964
	s_and_saveexec_b64 s[2:3], s[0:1]
	s_cbranch_execz .LBB0_3
; %bb.2:
	v_mov_b32_e32 v7, s19
	v_add_co_u32_e32 v2, vcc, s18, v2
	v_addc_co_u32_e32 v3, vcc, v3, v7, vcc
	global_load_dword v7, v[2:3], off
	global_load_dword v8, v[56:57], off offset:2016
	v_mov_b32_e32 v9, s15
	v_add_co_u32_e32 v2, vcc, s14, v2
	v_addc_co_u32_e32 v3, vcc, v3, v9, vcc
	global_load_dword v10, v[2:3], off
	global_load_dword v11, v[0:1], off offset:20
	v_add_co_u32_e32 v2, vcc, s14, v2
	v_addc_co_u32_e32 v3, vcc, v3, v9, vcc
	global_load_dword v9, v[2:3], off
	global_load_dword v12, v[0:1], off offset:2120
	s_waitcnt vmcnt(5)
	v_lshrrev_b32_e32 v0, 16, v7
	s_waitcnt vmcnt(4)
	v_mul_f16_sdwa v1, v8, v7 dst_sel:DWORD dst_unused:UNUSED_PAD src0_sel:WORD_1 src1_sel:DWORD
	v_mul_f16_sdwa v2, v8, v0 dst_sel:DWORD dst_unused:UNUSED_PAD src0_sel:WORD_1 src1_sel:DWORD
	v_fma_f16 v0, v8, v0, -v1
	v_fma_f16 v2, v8, v7, v2
	v_pack_b32_f16 v0, v2, v0
	s_waitcnt vmcnt(3)
	v_lshrrev_b32_e32 v1, 16, v10
	s_waitcnt vmcnt(2)
	v_mul_f16_sdwa v3, v11, v10 dst_sel:DWORD dst_unused:UNUSED_PAD src0_sel:WORD_1 src1_sel:DWORD
	v_mul_f16_sdwa v7, v11, v1 dst_sel:DWORD dst_unused:UNUSED_PAD src0_sel:WORD_1 src1_sel:DWORD
	v_fma_f16 v1, v11, v1, -v3
	v_fma_f16 v2, v11, v10, v7
	s_waitcnt vmcnt(1)
	v_lshrrev_b32_e32 v3, 16, v9
	s_waitcnt vmcnt(0)
	v_mul_f16_sdwa v8, v12, v9 dst_sel:DWORD dst_unused:UNUSED_PAD src0_sel:WORD_1 src1_sel:DWORD
	v_mul_f16_sdwa v7, v12, v3 dst_sel:DWORD dst_unused:UNUSED_PAD src0_sel:WORD_1 src1_sel:DWORD
	v_fma_f16 v3, v12, v3, -v8
	ds_write_b32 v109, v0 offset:2016
	v_pack_b32_f16 v0, v2, v1
	v_fma_f16 v1, v12, v9, v7
	ds_write_b32 v109, v0 offset:4116
	v_pack_b32_f16 v0, v1, v3
	ds_write_b32 v109, v0 offset:6216
.LBB0_3:
	s_or_b64 exec, exec, s[2:3]
	s_waitcnt lgkmcnt(0)
	; wave barrier
	s_waitcnt lgkmcnt(0)
	ds_read2_b32 v[18:19], v109 offset1:63
	ds_read2_b32 v[20:21], v4 offset0:13 offset1:76
	ds_read2_b32 v[22:23], v5 offset0:26 offset1:89
	;; [unrolled: 1-line block ×11, first 2 shown]
                                        ; implicit-def: $vgpr25
                                        ; implicit-def: $vgpr26
                                        ; implicit-def: $vgpr31
	s_and_saveexec_b64 s[2:3], s[0:1]
	s_cbranch_execz .LBB0_5
; %bb.4:
	ds_read_b32 v26, v109 offset:2016
	ds_read_b32 v31, v109 offset:4116
	;; [unrolled: 1-line block ×3, first 2 shown]
.LBB0_5:
	s_or_b64 exec, exec, s[2:3]
	s_movk_i32 s2, 0xfc
	v_add_co_u32_e32 v91, vcc, s2, v132
	s_movk_i32 s2, 0x13b
	v_add_co_u32_e32 v27, vcc, s2, v132
	s_movk_i32 s2, 0x17a
	v_add_co_u32_e32 v28, vcc, s2, v132
	s_movk_i32 s2, 0x1b9
	v_add_co_u32_e32 v29, vcc, s2, v132
	s_movk_i32 s2, 0x1f8
	s_waitcnt lgkmcnt(1)
	v_pk_add_f16 v24, v26, v31
	v_add_co_u32_e32 v30, vcc, s2, v132
	s_waitcnt lgkmcnt(0)
	v_pk_add_f16 v24, v25, v24
	v_pk_add_f16 v40, v25, v31
	v_pk_add_f16 v25, v31, v25 neg_lo:[0,1] neg_hi:[0,1]
	s_movk_i32 s2, 0x3aee
	v_pk_fma_f16 v26, v40, 0.5, v26 op_sel_hi:[1,0,1] neg_lo:[1,0,0] neg_hi:[1,0,0]
	v_pk_mul_f16 v31, v25, s2 op_sel_hi:[1,0]
	v_pk_add_f16 v32, v18, v20
	v_pk_add_f16 v25, v26, v31 op_sel:[0,1] op_sel_hi:[1,0] neg_lo:[0,1] neg_hi:[0,1]
	v_pk_add_f16 v26, v31, v26 op_sel:[1,0] op_sel_hi:[0,1]
	v_mul_lo_u16_e32 v31, 3, v132
	v_lshlrev_b32_e32 v135, 2, v31
	v_pk_add_f16 v31, v32, v22
	v_pk_add_f16 v32, v20, v22
	v_pk_add_f16 v20, v20, v22 neg_lo:[0,1] neg_hi:[0,1]
	v_pk_fma_f16 v18, v32, 0.5, v18 op_sel_hi:[1,0,1] neg_lo:[1,0,0] neg_hi:[1,0,0]
	v_pk_mul_f16 v20, v20, s2 op_sel_hi:[1,0]
	v_pk_add_f16 v22, v18, v20 op_sel:[0,1] op_sel_hi:[1,0]
	v_pk_add_f16 v18, v18, v20 op_sel:[0,1] op_sel_hi:[1,0] neg_lo:[0,1] neg_hi:[0,1]
	s_mov_b32 s14, 0xffff
	v_bfi_b32 v20, s14, v22, v18
	s_waitcnt lgkmcnt(0)
	; wave barrier
	ds_write2_b32 v135, v31, v20 offset1:1
	v_pk_add_f16 v20, v21, v23
	v_pk_add_f16 v33, v19, v21
	v_pk_fma_f16 v19, v20, 0.5, v19 op_sel_hi:[1,0,1] neg_lo:[1,0,0] neg_hi:[1,0,0]
	v_pk_add_f16 v20, v21, v23 neg_lo:[0,1] neg_hi:[0,1]
	v_add_co_u32_e32 v94, vcc, 63, v132
	v_bfi_b32 v18, s14, v18, v22
	v_pk_mul_f16 v20, v20, s2 op_sel_hi:[1,0]
	ds_write_b32 v135, v18 offset:8
	v_mul_u32_u24_e32 v18, 3, v94
	v_pk_add_f16 v21, v19, v20 op_sel:[0,1] op_sel_hi:[1,0]
	v_pk_add_f16 v19, v19, v20 op_sel:[0,1] op_sel_hi:[1,0] neg_lo:[0,1] neg_hi:[0,1]
	v_lshlrev_b32_e32 v136, 2, v18
	v_pk_add_f16 v18, v33, v23
	v_bfi_b32 v20, s14, v21, v19
	v_add_co_u32_e32 v93, vcc, 0x7e, v132
	v_pk_add_f16 v34, v12, v14
	ds_write2_b32 v136, v18, v20 offset1:1
	v_bfi_b32 v18, s14, v19, v21
	v_pk_add_f16 v19, v14, v16
	v_pk_add_f16 v14, v14, v16 neg_lo:[0,1] neg_hi:[0,1]
	ds_write_b32 v136, v18 offset:8
	v_mul_u32_u24_e32 v18, 3, v93
	v_pk_fma_f16 v12, v19, 0.5, v12 op_sel_hi:[1,0,1] neg_lo:[1,0,0] neg_hi:[1,0,0]
	v_pk_mul_f16 v14, v14, s2 op_sel_hi:[1,0]
	v_lshlrev_b32_e32 v137, 2, v18
	v_pk_add_f16 v18, v34, v16
	v_pk_add_f16 v16, v12, v14 op_sel:[0,1] op_sel_hi:[1,0]
	v_pk_add_f16 v12, v12, v14 op_sel:[0,1] op_sel_hi:[1,0] neg_lo:[0,1] neg_hi:[0,1]
	v_bfi_b32 v14, s14, v16, v12
	ds_write2_b32 v137, v18, v14 offset1:1
	v_pk_add_f16 v14, v15, v17
	v_pk_add_f16 v35, v13, v15
	v_pk_fma_f16 v13, v14, 0.5, v13 op_sel_hi:[1,0,1] neg_lo:[1,0,0] neg_hi:[1,0,0]
	v_pk_add_f16 v14, v15, v17 neg_lo:[0,1] neg_hi:[0,1]
	v_add_co_u32_e32 v92, vcc, 0xbd, v132
	v_bfi_b32 v12, s14, v12, v16
	v_pk_mul_f16 v14, v14, s2 op_sel_hi:[1,0]
	ds_write_b32 v137, v12 offset:8
	v_mul_u32_u24_e32 v12, 3, v92
	v_pk_add_f16 v15, v13, v14 op_sel:[0,1] op_sel_hi:[1,0]
	v_pk_add_f16 v13, v13, v14 op_sel:[0,1] op_sel_hi:[1,0] neg_lo:[0,1] neg_hi:[0,1]
	v_lshlrev_b32_e32 v138, 2, v12
	v_pk_add_f16 v12, v35, v17
	v_bfi_b32 v14, s14, v15, v13
	v_pk_add_f16 v36, v6, v8
	ds_write2_b32 v138, v12, v14 offset1:1
	v_bfi_b32 v12, s14, v13, v15
	v_pk_add_f16 v13, v8, v10
	v_pk_add_f16 v8, v8, v10 neg_lo:[0,1] neg_hi:[0,1]
	ds_write_b32 v138, v12 offset:8
	v_mul_u32_u24_e32 v12, 3, v91
	v_pk_fma_f16 v6, v13, 0.5, v6 op_sel_hi:[1,0,1] neg_lo:[1,0,0] neg_hi:[1,0,0]
	v_pk_mul_f16 v8, v8, s2 op_sel_hi:[1,0]
	v_lshlrev_b32_e32 v139, 2, v12
	v_pk_add_f16 v12, v36, v10
	v_pk_add_f16 v10, v6, v8 op_sel:[0,1] op_sel_hi:[1,0]
	v_pk_add_f16 v6, v6, v8 op_sel:[0,1] op_sel_hi:[1,0] neg_lo:[0,1] neg_hi:[0,1]
	v_bfi_b32 v8, s14, v10, v6
	ds_write2_b32 v139, v12, v8 offset1:1
	v_pk_add_f16 v8, v9, v11
	v_pk_add_f16 v37, v7, v9
	v_pk_fma_f16 v7, v8, 0.5, v7 op_sel_hi:[1,0,1] neg_lo:[1,0,0] neg_hi:[1,0,0]
	v_pk_add_f16 v8, v9, v11 neg_lo:[0,1] neg_hi:[0,1]
	v_bfi_b32 v6, s14, v6, v10
	v_pk_mul_f16 v8, v8, s2 op_sel_hi:[1,0]
	ds_write_b32 v139, v6 offset:8
	v_mul_u32_u24_e32 v6, 3, v27
	v_pk_add_f16 v9, v7, v8 op_sel:[0,1] op_sel_hi:[1,0]
	v_pk_add_f16 v7, v7, v8 op_sel:[0,1] op_sel_hi:[1,0] neg_lo:[0,1] neg_hi:[0,1]
	v_lshlrev_b32_e32 v140, 2, v6
	v_pk_add_f16 v6, v37, v11
	v_bfi_b32 v8, s14, v9, v7
	v_pk_add_f16 v38, v0, v2
	ds_write2_b32 v140, v6, v8 offset1:1
	v_bfi_b32 v6, s14, v7, v9
	v_pk_add_f16 v7, v2, v4
	v_pk_add_f16 v2, v2, v4 neg_lo:[0,1] neg_hi:[0,1]
	ds_write_b32 v140, v6 offset:8
	v_mul_u32_u24_e32 v6, 3, v28
	v_pk_fma_f16 v0, v7, 0.5, v0 op_sel_hi:[1,0,1] neg_lo:[1,0,0] neg_hi:[1,0,0]
	v_pk_mul_f16 v2, v2, s2 op_sel_hi:[1,0]
	v_lshlrev_b32_e32 v141, 2, v6
	v_pk_add_f16 v6, v38, v4
	v_pk_add_f16 v4, v0, v2 op_sel:[0,1] op_sel_hi:[1,0]
	v_pk_add_f16 v0, v0, v2 op_sel:[0,1] op_sel_hi:[1,0] neg_lo:[0,1] neg_hi:[0,1]
	v_bfi_b32 v2, s14, v4, v0
	ds_write2_b32 v141, v6, v2 offset1:1
	v_pk_add_f16 v2, v3, v5
	s_load_dwordx2 s[4:5], s[4:5], 0x8
	v_pk_add_f16 v39, v1, v3
	v_pk_fma_f16 v1, v2, 0.5, v1 op_sel_hi:[1,0,1] neg_lo:[1,0,0] neg_hi:[1,0,0]
	v_pk_add_f16 v2, v3, v5 neg_lo:[0,1] neg_hi:[0,1]
	v_bfi_b32 v0, s14, v0, v4
	v_pk_mul_f16 v2, v2, s2 op_sel_hi:[1,0]
	ds_write_b32 v141, v0 offset:8
	v_mul_u32_u24_e32 v0, 3, v29
	v_pk_add_f16 v3, v1, v2 op_sel:[0,1] op_sel_hi:[1,0]
	v_pk_add_f16 v1, v1, v2 op_sel:[0,1] op_sel_hi:[1,0] neg_lo:[0,1] neg_hi:[0,1]
	v_lshlrev_b32_e32 v142, 2, v0
	v_pk_add_f16 v0, v39, v5
	v_bfi_b32 v2, s14, v3, v1
	ds_write2_b32 v142, v0, v2 offset1:1
	v_bfi_b32 v0, s14, v1, v3
	v_mul_u32_u24_e32 v143, 3, v30
	ds_write_b32 v142, v0 offset:8
	s_and_saveexec_b64 s[2:3], s[0:1]
	s_cbranch_execz .LBB0_7
; %bb.6:
	v_lshlrev_b32_e32 v0, 2, v143
	v_bfi_b32 v1, s14, v25, v26
	v_bfi_b32 v2, s14, v26, v25
	ds_write_b32 v0, v24
	ds_write2_b32 v0, v2, v1 offset0:1 offset1:2
.LBB0_7:
	s_or_b64 exec, exec, s[2:3]
	v_add_u32_e32 v0, 0x800, v109
	v_add_u32_e32 v1, 0x1000, v109
	s_waitcnt lgkmcnt(0)
	; wave barrier
	s_waitcnt lgkmcnt(0)
	ds_read2_b32 v[6:7], v109 offset1:63
	ds_read2_b32 v[22:23], v0 offset0:13 offset1:76
	ds_read2_b32 v[20:21], v1 offset0:26 offset1:89
	;; [unrolled: 1-line block ×5, first 2 shown]
	v_add_u32_e32 v0, 0x200, v109
	ds_read2_b32 v[2:3], v0 offset0:124 offset1:187
	v_add_u32_e32 v8, 0xc00, v109
	v_add_u32_e32 v9, 0x1400, v109
	;; [unrolled: 1-line block ×3, first 2 shown]
	ds_read2_b32 v[14:15], v8 offset0:9 offset1:72
	ds_read2_b32 v[12:13], v9 offset0:22 offset1:85
	;; [unrolled: 1-line block ×5, first 2 shown]
	v_lshrrev_b32_e32 v31, 16, v25
	s_and_saveexec_b64 s[2:3], s[0:1]
	s_cbranch_execz .LBB0_9
; %bb.8:
	ds_read_b32 v26, v109 offset:4116
	ds_read_b32 v25, v109 offset:6216
	;; [unrolled: 1-line block ×3, first 2 shown]
	s_waitcnt lgkmcnt(2)
	v_lshrrev_b32_e32 v31, 16, v26
	s_waitcnt lgkmcnt(1)
	v_bfi_b32 v26, s14, v26, v25
.LBB0_9:
	s_or_b64 exec, exec, s[2:3]
	s_movk_i32 s2, 0xab
	s_mov_b32 s3, 0xaaab
	v_mul_lo_u16_sdwa v32, v132, s2 dst_sel:DWORD dst_unused:UNUSED_PAD src0_sel:BYTE_0 src1_sel:DWORD
	v_mul_lo_u16_sdwa v35, v94, s2 dst_sel:DWORD dst_unused:UNUSED_PAD src0_sel:BYTE_0 src1_sel:DWORD
	;; [unrolled: 1-line block ×3, first 2 shown]
	v_mul_u32_u24_sdwa v46, v27, s3 dst_sel:DWORD dst_unused:UNUSED_PAD src0_sel:WORD_0 src1_sel:DWORD
	v_lshrrev_b16_e32 v32, 9, v32
	v_lshrrev_b16_e32 v35, 9, v35
	v_mul_u32_u24_sdwa v47, v28, s3 dst_sel:DWORD dst_unused:UNUSED_PAD src0_sel:WORD_0 src1_sel:DWORD
	v_lshrrev_b16_e32 v43, 9, v43
	v_lshrrev_b32_e32 v46, 17, v46
	v_mul_lo_u16_e32 v33, 3, v32
	v_mul_lo_u16_e32 v36, 3, v35
	;; [unrolled: 1-line block ×3, first 2 shown]
	v_lshrrev_b32_e32 v47, 17, v47
	v_mul_lo_u16_e32 v52, 3, v46
	v_sub_u16_e32 v33, v132, v33
	v_sub_u16_e32 v36, v94, v36
	;; [unrolled: 1-line block ×3, first 2 shown]
	v_mul_lo_u16_e32 v53, 3, v47
	v_sub_u16_e32 v27, v27, v52
	v_and_b32_e32 v33, 0xff, v33
	v_and_b32_e32 v38, 0xff, v36
	;; [unrolled: 1-line block ×3, first 2 shown]
	v_sub_u16_e32 v28, v28, v53
	v_lshlrev_b16_e32 v53, 1, v27
	v_lshlrev_b32_e32 v34, 3, v33
	v_lshlrev_b32_e32 v36, 3, v38
	;; [unrolled: 1-line block ×4, first 2 shown]
	global_load_dwordx2 v[59:60], v34, s[4:5]
	global_load_dwordx2 v[63:64], v36, s[4:5]
	;; [unrolled: 1-line block ×4, first 2 shown]
	v_mul_u32_u24_sdwa v34, v30, s3 dst_sel:DWORD dst_unused:UNUSED_PAD src0_sel:WORD_0 src1_sel:DWORD
	v_lshrrev_b32_e32 v34, 17, v34
	v_mul_lo_u16_e32 v37, 3, v34
	v_sub_u16_e32 v30, v30, v37
	v_lshlrev_b16_e32 v36, 1, v30
	v_lshlrev_b32_e32 v36, 2, v36
	global_load_dwordx2 v[61:62], v36, s[4:5]
	v_mul_lo_u16_sdwa v44, v92, s2 dst_sel:DWORD dst_unused:UNUSED_PAD src0_sel:BYTE_0 src1_sel:DWORD
	v_lshrrev_b16_e32 v44, 9, v44
	v_mul_lo_u16_e32 v50, 3, v44
	v_sub_u16_e32 v50, v92, v50
	v_mul_u32_u24_sdwa v45, v91, s3 dst_sel:DWORD dst_unused:UNUSED_PAD src0_sel:WORD_0 src1_sel:DWORD
	v_and_b32_e32 v50, 0xff, v50
	v_lshrrev_b32_e32 v45, 17, v45
	v_lshlrev_b32_e32 v51, 3, v50
	global_load_dwordx2 v[69:70], v51, s[4:5]
	v_mul_lo_u16_e32 v51, 3, v45
	v_sub_u16_e32 v51, v91, v51
	v_lshlrev_b16_e32 v52, 1, v51
	v_lshlrev_b32_e32 v52, 2, v52
	global_load_dwordx2 v[75:76], v52, s[4:5]
	v_mul_u32_u24_sdwa v48, v29, s3 dst_sel:DWORD dst_unused:UNUSED_PAD src0_sel:WORD_0 src1_sel:DWORD
	v_lshrrev_b32_e32 v48, 17, v48
	v_mul_lo_u16_e32 v54, 3, v48
	v_sub_u16_e32 v29, v29, v54
	v_lshlrev_b16_e32 v52, 1, v28
	v_lshlrev_b16_e32 v54, 1, v29
	v_lshlrev_b32_e32 v52, 2, v52
	v_lshlrev_b32_e32 v53, 2, v54
	global_load_dwordx2 v[67:68], v52, s[4:5]
	global_load_dwordx2 v[65:66], v53, s[4:5]
	s_waitcnt lgkmcnt(10)
	v_lshrrev_b32_e32 v40, 16, v23
	v_lshrrev_b32_e32 v36, 16, v22
	s_waitcnt lgkmcnt(9)
	v_lshrrev_b32_e32 v37, 16, v20
	v_lshrrev_b32_e32 v41, 16, v21
	;; [unrolled: 1-line block ×3, first 2 shown]
	s_movk_i32 s2, 0x3aee
	s_mov_b32 s3, 0xbaee
	v_mul_u32_u24_e32 v32, 9, v32
	v_add_lshl_u32 v144, v32, v33, 2
	s_waitcnt lgkmcnt(7)
	v_lshrrev_b32_e32 v42, 16, v18
	s_waitcnt lgkmcnt(0)
	; wave barrier
	s_waitcnt lgkmcnt(0)
	v_mad_legacy_u16 v150, v34, 9, v30
	s_waitcnt vmcnt(8)
	v_mul_f16_sdwa v52, v36, v59 dst_sel:DWORD dst_unused:UNUSED_PAD src0_sel:DWORD src1_sel:WORD_1
	s_waitcnt vmcnt(7)
	v_mul_f16_sdwa v77, v40, v63 dst_sel:DWORD dst_unused:UNUSED_PAD src0_sel:DWORD src1_sel:WORD_1
	v_mul_f16_sdwa v78, v23, v63 dst_sel:DWORD dst_unused:UNUSED_PAD src0_sel:DWORD src1_sel:WORD_1
	v_fma_f16 v77, v23, v63, -v77
	v_lshrrev_b32_e32 v23, 16, v26
	v_mul_f16_sdwa v53, v22, v59 dst_sel:DWORD dst_unused:UNUSED_PAD src0_sel:DWORD src1_sel:WORD_1
	v_mul_f16_sdwa v54, v37, v60 dst_sel:DWORD dst_unused:UNUSED_PAD src0_sel:DWORD src1_sel:WORD_1
	;; [unrolled: 1-line block ×3, first 2 shown]
	v_fma_f16 v52, v22, v59, -v52
	v_mul_f16_sdwa v55, v20, v60 dst_sel:DWORD dst_unused:UNUSED_PAD src0_sel:DWORD src1_sel:WORD_1
	s_waitcnt vmcnt(4)
	v_mul_f16_sdwa v81, v31, v61 dst_sel:DWORD dst_unused:UNUSED_PAD src0_sel:DWORD src1_sel:WORD_1
	v_mul_f16_sdwa v22, v23, v62 dst_sel:DWORD dst_unused:UNUSED_PAD src0_sel:DWORD src1_sel:WORD_1
	;; [unrolled: 1-line block ×3, first 2 shown]
	v_fma_f16 v54, v20, v60, -v54
	v_fma_f16 v40, v40, v63, v78
	v_fma_f16 v78, v21, v64, -v79
	v_fma_f16 v20, v26, v61, -v81
	v_mul_f16_sdwa v21, v26, v61 dst_sel:DWORD dst_unused:UNUSED_PAD src0_sel:DWORD src1_sel:WORD_1
	v_fma_f16 v22, v25, v62, -v22
	v_mul_f16_sdwa v25, v25, v62 dst_sel:DWORD dst_unused:UNUSED_PAD src0_sel:DWORD src1_sel:WORD_1
	v_fma_f16 v53, v36, v59, v53
	v_fma_f16 v55, v37, v60, v55
	;; [unrolled: 1-line block ×4, first 2 shown]
	v_add_f16_e32 v25, v20, v22
	v_fma_f16 v25, v25, -0.5, v24
	v_sub_f16_e32 v26, v21, v23
	v_add_f16_e32 v31, v53, v55
	v_fma_f16 v36, v26, s2, v25
	v_fma_f16 v37, v26, s3, v25
	v_add_f16_e32 v26, v39, v53
	v_fma_f16 v31, v31, -0.5, v39
	v_add_f16_e32 v39, v52, v54
	v_sub_f16_e32 v25, v53, v55
	v_add_f16_e32 v53, v6, v52
	v_sub_f16_e32 v52, v52, v54
	v_fma_f16 v6, v39, -0.5, v6
	v_add_f16_e32 v26, v26, v55
	v_add_f16_e32 v53, v53, v54
	v_fma_f16 v32, v25, s2, v6
	v_fma_f16 v33, v52, s3, v31
	v_pack_b32_f16 v26, v53, v26
	v_pack_b32_f16 v32, v32, v33
	v_lshrrev_b32_e32 v33, 16, v19
	ds_write2_b32 v144, v26, v32 offset1:3
	v_mul_f16_sdwa v26, v42, v73 dst_sel:DWORD dst_unused:UNUSED_PAD src0_sel:DWORD src1_sel:WORD_1
	v_lshrrev_b32_e32 v54, 16, v16
	v_fma_f16 v26, v18, v73, -v26
	v_mul_f16_sdwa v18, v18, v73 dst_sel:DWORD dst_unused:UNUSED_PAD src0_sel:DWORD src1_sel:WORD_1
	s_waitcnt vmcnt(3)
	v_mul_f16_sdwa v32, v33, v69 dst_sel:DWORD dst_unused:UNUSED_PAD src0_sel:DWORD src1_sel:WORD_1
	v_fma_f16 v18, v42, v73, v18
	v_fma_f16 v32, v19, v69, -v32
	v_mul_f16_sdwa v19, v19, v69 dst_sel:DWORD dst_unused:UNUSED_PAD src0_sel:DWORD src1_sel:WORD_1
	v_lshrrev_b32_e32 v39, 16, v17
	v_mul_f16_sdwa v42, v54, v74 dst_sel:DWORD dst_unused:UNUSED_PAD src0_sel:DWORD src1_sel:WORD_1
	v_fma_f16 v19, v33, v69, v19
	v_mul_f16_sdwa v33, v16, v74 dst_sel:DWORD dst_unused:UNUSED_PAD src0_sel:DWORD src1_sel:WORD_1
	v_fma_f16 v16, v16, v74, -v42
	v_mul_f16_sdwa v42, v39, v70 dst_sel:DWORD dst_unused:UNUSED_PAD src0_sel:DWORD src1_sel:WORD_1
	v_fma_f16 v42, v17, v70, -v42
	v_mul_f16_sdwa v17, v17, v70 dst_sel:DWORD dst_unused:UNUSED_PAD src0_sel:DWORD src1_sel:WORD_1
	v_fma_f16 v17, v39, v70, v17
	v_lshrrev_b32_e32 v39, 16, v14
	s_waitcnt vmcnt(2)
	v_mul_f16_sdwa v53, v14, v75 dst_sel:DWORD dst_unused:UNUSED_PAD src0_sel:DWORD src1_sel:WORD_1
	v_fma_f16 v53, v39, v75, v53
	v_mul_f16_sdwa v39, v39, v75 dst_sel:DWORD dst_unused:UNUSED_PAD src0_sel:DWORD src1_sel:WORD_1
	v_fma_f16 v14, v14, v75, -v39
	v_lshrrev_b32_e32 v39, 16, v15
	v_fma_f16 v33, v54, v74, v33
	v_mul_f16_sdwa v54, v39, v71 dst_sel:DWORD dst_unused:UNUSED_PAD src0_sel:DWORD src1_sel:WORD_1
	v_fma_f16 v54, v15, v71, -v54
	v_mul_f16_sdwa v15, v15, v71 dst_sel:DWORD dst_unused:UNUSED_PAD src0_sel:DWORD src1_sel:WORD_1
	v_fma_f16 v15, v39, v71, v15
	v_lshrrev_b32_e32 v39, 16, v12
	v_mul_f16_sdwa v55, v12, v76 dst_sel:DWORD dst_unused:UNUSED_PAD src0_sel:DWORD src1_sel:WORD_1
	v_fma_f16 v55, v39, v76, v55
	v_mul_f16_sdwa v39, v39, v76 dst_sel:DWORD dst_unused:UNUSED_PAD src0_sel:DWORD src1_sel:WORD_1
	v_fma_f16 v12, v12, v76, -v39
	v_lshrrev_b32_e32 v39, 16, v13
	v_mul_f16_sdwa v79, v39, v72 dst_sel:DWORD dst_unused:UNUSED_PAD src0_sel:DWORD src1_sel:WORD_1
	v_fma_f16 v79, v13, v72, -v79
	v_mul_f16_sdwa v13, v13, v72 dst_sel:DWORD dst_unused:UNUSED_PAD src0_sel:DWORD src1_sel:WORD_1
	v_fma_f16 v41, v41, v64, v80
	v_fma_f16 v13, v39, v72, v13
	v_lshrrev_b32_e32 v39, 16, v10
	s_waitcnt vmcnt(1)
	v_mul_f16_sdwa v80, v10, v67 dst_sel:DWORD dst_unused:UNUSED_PAD src0_sel:DWORD src1_sel:WORD_1
	v_fma_f16 v80, v39, v67, v80
	v_mul_f16_sdwa v39, v39, v67 dst_sel:DWORD dst_unused:UNUSED_PAD src0_sel:DWORD src1_sel:WORD_1
	v_fma_f16 v10, v10, v67, -v39
	v_lshrrev_b32_e32 v39, 16, v11
	s_waitcnt vmcnt(0)
	v_mul_f16_sdwa v81, v39, v65 dst_sel:DWORD dst_unused:UNUSED_PAD src0_sel:DWORD src1_sel:WORD_1
	v_fma_f16 v81, v11, v65, -v81
	v_mul_f16_sdwa v11, v11, v65 dst_sel:DWORD dst_unused:UNUSED_PAD src0_sel:DWORD src1_sel:WORD_1
	v_fma_f16 v11, v39, v65, v11
	v_lshrrev_b32_e32 v39, 16, v8
	v_mul_f16_sdwa v82, v8, v68 dst_sel:DWORD dst_unused:UNUSED_PAD src0_sel:DWORD src1_sel:WORD_1
	v_fma_f16 v82, v39, v68, v82
	v_mul_f16_sdwa v39, v39, v68 dst_sel:DWORD dst_unused:UNUSED_PAD src0_sel:DWORD src1_sel:WORD_1
	v_fma_f16 v8, v8, v68, -v39
	v_lshrrev_b32_e32 v39, 16, v9
	v_mul_f16_sdwa v83, v39, v66 dst_sel:DWORD dst_unused:UNUSED_PAD src0_sel:DWORD src1_sel:WORD_1
	v_fma_f16 v83, v9, v66, -v83
	v_mul_f16_sdwa v9, v9, v66 dst_sel:DWORD dst_unused:UNUSED_PAD src0_sel:DWORD src1_sel:WORD_1
	v_fma_f16 v6, v25, s3, v6
	v_fma_f16 v25, v52, s2, v31
	v_add_f16_e32 v31, v77, v78
	v_fma_f16 v9, v39, v66, v9
	v_fma_f16 v31, v31, -0.5, v7
	v_lshrrev_b32_e32 v39, 16, v7
	v_sub_f16_e32 v52, v40, v41
	v_fma_f16 v84, v52, s2, v31
	v_fma_f16 v31, v52, s3, v31
	v_add_f16_e32 v52, v39, v40
	v_add_f16_e32 v40, v40, v41
	;; [unrolled: 1-line block ×3, first 2 shown]
	v_fma_f16 v39, v40, -0.5, v39
	v_sub_f16_e32 v40, v77, v78
	v_pack_b32_f16 v6, v6, v25
	v_add_f16_e32 v52, v52, v41
	v_add_f16_e32 v7, v7, v78
	v_fma_f16 v41, v40, s3, v39
	ds_write_b32 v144, v6 offset:24
	v_mul_u32_u24_e32 v6, 9, v35
	v_add_lshl_u32 v146, v6, v38, 2
	v_pack_b32_f16 v6, v7, v52
	v_pack_b32_f16 v7, v84, v41
	ds_write2_b32 v146, v6, v7 offset1:3
	v_add_f16_e32 v6, v26, v16
	v_fma_f16 v6, v6, -0.5, v4
	v_sub_f16_e32 v7, v18, v33
	v_fma_f16 v25, v7, s2, v6
	v_fma_f16 v6, v7, s3, v6
	v_lshrrev_b32_e32 v7, 16, v4
	v_add_f16_e32 v35, v7, v18
	v_add_f16_e32 v18, v18, v33
	;; [unrolled: 1-line block ×3, first 2 shown]
	v_fma_f16 v7, v18, -0.5, v7
	v_add_f16_e32 v4, v4, v16
	v_sub_f16_e32 v16, v26, v16
	v_fma_f16 v18, v16, s3, v7
	v_fma_f16 v7, v16, s2, v7
	v_add_f16_e32 v16, v32, v42
	v_add_f16_e32 v35, v35, v33
	v_fma_f16 v16, v16, -0.5, v5
	v_lshrrev_b32_e32 v26, 16, v5
	v_sub_f16_e32 v33, v19, v17
	v_fma_f16 v38, v33, s2, v16
	v_fma_f16 v16, v33, s3, v16
	v_add_f16_e32 v33, v26, v19
	v_add_f16_e32 v33, v33, v17
	;; [unrolled: 1-line block ×3, first 2 shown]
	v_fma_f16 v17, v17, -0.5, v26
	v_sub_f16_e32 v19, v32, v42
	v_fma_f16 v26, v19, s3, v17
	v_fma_f16 v17, v19, s2, v17
	v_add_f16_e32 v19, v14, v12
	v_add_f16_e32 v5, v5, v32
	v_fma_f16 v19, v19, -0.5, v2
	v_sub_f16_e32 v32, v53, v55
	v_fma_f16 v39, v40, s2, v39
	v_add_f16_e32 v5, v5, v42
	v_fma_f16 v40, v32, s2, v19
	v_fma_f16 v19, v32, s3, v19
	v_lshrrev_b32_e32 v32, 16, v2
	v_add_f16_e32 v42, v53, v55
	v_add_f16_e32 v2, v2, v14
	;; [unrolled: 1-line block ×3, first 2 shown]
	v_fma_f16 v32, v42, -0.5, v32
	v_add_f16_e32 v2, v2, v12
	v_sub_f16_e32 v12, v14, v12
	v_fma_f16 v14, v12, s3, v32
	v_fma_f16 v12, v12, s2, v32
	v_add_f16_e32 v32, v54, v79
	v_fma_f16 v32, v32, -0.5, v3
	v_lshrrev_b32_e32 v42, 16, v3
	v_sub_f16_e32 v52, v15, v13
	v_fma_f16 v53, v52, s2, v32
	v_fma_f16 v32, v52, s3, v32
	v_add_f16_e32 v52, v42, v15
	v_add_f16_e32 v52, v52, v13
	;; [unrolled: 1-line block ×3, first 2 shown]
	v_fma_f16 v13, v13, -0.5, v42
	v_sub_f16_e32 v15, v54, v79
	v_fma_f16 v42, v15, s3, v13
	v_fma_f16 v13, v15, s2, v13
	v_add_f16_e32 v15, v10, v8
	v_add_f16_e32 v3, v3, v54
	v_fma_f16 v15, v15, -0.5, v0
	v_sub_f16_e32 v54, v80, v82
	v_add_f16_e32 v41, v41, v55
	v_fma_f16 v55, v54, s2, v15
	v_fma_f16 v15, v54, s3, v15
	v_lshrrev_b32_e32 v54, 16, v0
	v_add_f16_e32 v78, v80, v82
	v_add_f16_e32 v0, v0, v10
	;; [unrolled: 1-line block ×3, first 2 shown]
	v_fma_f16 v54, v78, -0.5, v54
	v_add_f16_e32 v78, v0, v8
	v_sub_f16_e32 v0, v10, v8
	v_fma_f16 v8, v0, s3, v54
	v_fma_f16 v10, v0, s2, v54
	v_add_f16_e32 v0, v81, v83
	v_add_f16_e32 v3, v3, v79
	v_fma_f16 v0, v0, -0.5, v1
	v_lshrrev_b32_e32 v54, 16, v1
	v_sub_f16_e32 v79, v11, v9
	v_fma_f16 v80, v79, s2, v0
	v_fma_f16 v79, v79, s3, v0
	v_add_f16_e32 v0, v54, v11
	v_add_f16_e32 v77, v77, v82
	;; [unrolled: 1-line block ×4, first 2 shown]
	v_fma_f16 v0, v0, -0.5, v54
	v_sub_f16_e32 v9, v81, v83
	v_fma_f16 v11, v9, s3, v0
	v_fma_f16 v9, v9, s2, v0
	v_pack_b32_f16 v0, v31, v39
	ds_write_b32 v146, v0 offset:24
	v_mul_u32_u24_e32 v0, 9, v43
	v_add_lshl_u32 v147, v0, v49, 2
	v_pack_b32_f16 v0, v4, v35
	v_pack_b32_f16 v4, v25, v18
	v_add_f16_e32 v18, v21, v23
	ds_write2_b32 v147, v0, v4 offset1:3
	v_lshrrev_b32_e32 v0, 16, v24
	v_fma_f16 v4, v18, -0.5, v0
	v_sub_f16_e32 v18, v20, v22
	v_fma_f16 v96, v18, s3, v4
	v_fma_f16 v95, v18, s2, v4
	v_pack_b32_f16 v4, v6, v7
	ds_write_b32 v147, v4 offset:24
	v_mul_u32_u24_e32 v4, 9, v44
	v_add_lshl_u32 v148, v4, v50, 2
	v_pack_b32_f16 v4, v5, v33
	v_pack_b32_f16 v5, v38, v26
	ds_write2_b32 v148, v4, v5 offset1:3
	v_pack_b32_f16 v4, v16, v17
	ds_write_b32 v148, v4 offset:24
	v_mad_legacy_u16 v4, v45, 9, v51
	v_lshlrev_b32_e32 v149, 2, v4
	v_pack_b32_f16 v2, v2, v41
	v_pack_b32_f16 v4, v40, v14
	ds_write2_b32 v149, v2, v4 offset1:3
	v_pack_b32_f16 v2, v19, v12
	ds_write_b32 v149, v2 offset:24
	v_mad_legacy_u16 v2, v46, 9, v27
	v_lshlrev_b32_e32 v151, 2, v2
	;; [unrolled: 7-line block ×3, first 2 shown]
	v_pack_b32_f16 v2, v78, v77
	v_pack_b32_f16 v3, v55, v8
	v_add_f16_e32 v1, v1, v81
	ds_write2_b32 v152, v2, v3 offset1:3
	v_pack_b32_f16 v2, v15, v10
	v_add_f16_e32 v1, v1, v83
	ds_write_b32 v152, v2 offset:24
	v_mad_legacy_u16 v2, v48, 9, v29
	v_lshlrev_b32_e32 v153, 2, v2
	v_pack_b32_f16 v1, v1, v82
	v_pack_b32_f16 v2, v80, v11
	ds_write2_b32 v153, v1, v2 offset1:3
	v_pack_b32_f16 v1, v79, v9
	ds_write_b32 v153, v1 offset:24
	s_and_saveexec_b64 s[2:3], s[0:1]
	s_cbranch_execz .LBB0_11
; %bb.10:
	v_add_f16_e32 v0, v0, v21
	v_add_f16_e32 v1, v24, v20
	;; [unrolled: 1-line block ×4, first 2 shown]
	s_mov_b32 s14, 0x5040100
	v_lshlrev_b32_e32 v2, 2, v150
	v_pack_b32_f16 v0, v1, v0
	v_perm_b32 v1, v96, v36, s14
	ds_write2_b32 v2, v0, v1 offset1:3
	v_perm_b32 v0, v95, v37, s14
	ds_write_b32 v2, v0 offset:24
.LBB0_11:
	s_or_b64 exec, exec, s[2:3]
	v_mov_b32_e32 v16, 57
	v_mul_lo_u16_sdwa v2, v132, v16 dst_sel:DWORD dst_unused:UNUSED_PAD src0_sel:BYTE_0 src1_sel:DWORD
	v_lshrrev_b16_e32 v26, 9, v2
	v_mul_lo_u16_e32 v2, 9, v26
	v_sub_u16_e32 v2, v132, v2
	v_and_b32_e32 v27, 0xff, v2
	v_lshlrev_b32_e32 v2, 4, v27
	s_waitcnt lgkmcnt(0)
	; wave barrier
	s_waitcnt lgkmcnt(0)
	global_load_dwordx4 v[4:7], v2, s[4:5] offset:24
	v_add_u32_e32 v8, 0x1200, v109
	ds_read2_b32 v[34:35], v8 offset0:108 offset1:171
	v_mul_lo_u16_sdwa v8, v94, v16 dst_sel:DWORD dst_unused:UNUSED_PAD src0_sel:BYTE_0 src1_sel:DWORD
	v_lshrrev_b16_e32 v54, 9, v8
	v_mul_lo_u16_e32 v8, 9, v54
	v_sub_u16_e32 v8, v94, v8
	v_and_b32_e32 v55, 0xff, v8
	v_lshlrev_b32_e32 v8, 4, v55
	global_load_dwordx4 v[8:11], v8, s[4:5] offset:24
	v_add_u32_e32 v12, 0xe00, v109
	ds_read2_b32 v[40:41], v12 offset0:112 offset1:175
	v_mul_lo_u16_sdwa v12, v93, v16 dst_sel:DWORD dst_unused:UNUSED_PAD src0_sel:BYTE_0 src1_sel:DWORD
	v_lshrrev_b16_e32 v82, 9, v12
	v_mul_lo_u16_e32 v12, 9, v82
	v_sub_u16_e32 v12, v93, v12
	v_and_b32_e32 v83, 0xff, v12
	v_lshlrev_b32_e32 v12, 4, v83
	global_load_dwordx4 v[12:15], v12, s[4:5] offset:24
	v_mul_lo_u16_sdwa v16, v92, v16 dst_sel:DWORD dst_unused:UNUSED_PAD src0_sel:BYTE_0 src1_sel:DWORD
	v_lshrrev_b16_e32 v90, 9, v16
	v_mul_lo_u16_e32 v16, 9, v90
	v_sub_u16_e32 v16, v92, v16
	v_and_b32_e32 v98, 0xff, v16
	v_lshlrev_b32_e32 v16, 4, v98
	global_load_dwordx4 v[16:19], v16, s[4:5] offset:24
	s_mov_b32 s2, 0xe38f
	v_mul_u32_u24_sdwa v20, v91, s2 dst_sel:DWORD dst_unused:UNUSED_PAD src0_sel:WORD_0 src1_sel:DWORD
	v_lshrrev_b32_e32 v101, 19, v20
	v_mul_lo_u16_e32 v20, 9, v101
	v_sub_u16_e32 v102, v91, v20
	v_lshlrev_b16_e32 v20, 4, v102
	v_mov_b32_e32 v21, s5
	v_add_co_u32_e32 v20, vcc, s4, v20
	v_addc_co_u32_e32 v21, vcc, 0, v21, vcc
	global_load_dwordx4 v[20:23], v[20:21], off offset:24
	v_add_u32_e32 v0, 0x200, v109
	ds_read2_b32 v[0:1], v0 offset0:124 offset1:187
	v_add_u32_e32 v3, 0x800, v109
	ds_read2_b32 v[30:31], v3 offset0:118 offset1:181
	;; [unrolled: 2-line block ×3, first 2 shown]
	s_waitcnt lgkmcnt(2)
	v_lshrrev_b32_e32 v53, 16, v1
	v_add_u32_e32 v24, 0x400, v109
	s_waitcnt lgkmcnt(1)
	v_lshrrev_b32_e32 v77, 16, v30
	ds_read2_b32 v[38:39], v24 offset0:122 offset1:185
	s_waitcnt lgkmcnt(1)
	v_lshrrev_b32_e32 v78, 16, v33
	v_lshrrev_b32_e32 v79, 16, v34
	;; [unrolled: 1-line block ×3, first 2 shown]
	v_add_u32_e32 v25, 0xa00, v109
	s_waitcnt lgkmcnt(0)
	v_lshrrev_b32_e32 v81, 16, v38
	v_lshrrev_b32_e32 v85, 16, v40
	ds_read2_b32 v[44:45], v25 offset0:116 offset1:179
	v_lshrrev_b32_e32 v86, 16, v35
	v_lshrrev_b32_e32 v88, 16, v39
	v_add_u32_e32 v99, 0x1400, v109
	ds_read2_b32 v[46:47], v99 offset0:106 offset1:169
	s_waitcnt lgkmcnt(1)
	v_lshrrev_b32_e32 v89, 16, v44
	v_add_u32_e32 v100, 0x600, v109
	ds_read2_b32 v[48:49], v100 offset0:120 offset1:183
	v_lshrrev_b32_e32 v97, 16, v41
	v_add_u32_e32 v103, 0x1000, v109
	s_waitcnt lgkmcnt(1)
	v_lshrrev_b32_e32 v104, 16, v46
	ds_read2_b32 v[50:51], v103 offset0:110 offset1:173
	s_waitcnt lgkmcnt(1)
	v_lshrrev_b32_e32 v106, 16, v48
	v_lshrrev_b32_e32 v107, 16, v45
	;; [unrolled: 1-line block ×4, first 2 shown]
	s_waitcnt lgkmcnt(0)
	v_lshrrev_b32_e32 v108, 16, v50
	ds_read2_b32 v[28:29], v109 offset1:63
	ds_read_b32 v154, v109 offset:6048
	v_lshrrev_b32_e32 v157, 16, v32
	v_lshrrev_b32_e32 v158, 16, v51
	s_movk_i32 s3, 0x3b9c
	s_mov_b32 s15, 0xbb9c
	s_waitcnt lgkmcnt(0)
	v_lshrrev_b32_e32 v159, 16, v154
	s_movk_i32 s2, 0x38b4
	s_mov_b32 s16, 0xb8b4
	s_waitcnt vmcnt(4)
	v_mul_f16_sdwa v160, v53, v4 dst_sel:DWORD dst_unused:UNUSED_PAD src0_sel:DWORD src1_sel:WORD_1
	v_fma_f16 v160, v1, v4, -v160
	v_mul_f16_sdwa v1, v1, v4 dst_sel:DWORD dst_unused:UNUSED_PAD src0_sel:DWORD src1_sel:WORD_1
	v_fma_f16 v1, v53, v4, v1
	v_mul_f16_sdwa v53, v77, v5 dst_sel:DWORD dst_unused:UNUSED_PAD src0_sel:DWORD src1_sel:WORD_1
	v_fma_f16 v53, v30, v5, -v53
	v_mul_f16_sdwa v30, v30, v5 dst_sel:DWORD dst_unused:UNUSED_PAD src0_sel:DWORD src1_sel:WORD_1
	v_fma_f16 v30, v77, v5, v30
	v_mul_f16_sdwa v77, v78, v6 dst_sel:DWORD dst_unused:UNUSED_PAD src0_sel:DWORD src1_sel:WORD_1
	v_fma_f16 v77, v33, v6, -v77
	v_mul_f16_sdwa v33, v33, v6 dst_sel:DWORD dst_unused:UNUSED_PAD src0_sel:DWORD src1_sel:WORD_1
	v_fma_f16 v33, v78, v6, v33
	v_mul_f16_sdwa v78, v79, v7 dst_sel:DWORD dst_unused:UNUSED_PAD src0_sel:DWORD src1_sel:WORD_1
	v_fma_f16 v78, v34, v7, -v78
	v_mul_f16_sdwa v34, v34, v7 dst_sel:DWORD dst_unused:UNUSED_PAD src0_sel:DWORD src1_sel:WORD_1
	v_fma_f16 v34, v79, v7, v34
	s_waitcnt vmcnt(3)
	v_mul_f16_sdwa v79, v81, v8 dst_sel:DWORD dst_unused:UNUSED_PAD src0_sel:DWORD src1_sel:WORD_1
	v_fma_f16 v79, v38, v8, -v79
	v_mul_f16_sdwa v38, v38, v8 dst_sel:DWORD dst_unused:UNUSED_PAD src0_sel:DWORD src1_sel:WORD_1
	v_fma_f16 v38, v81, v8, v38
	v_mul_f16_sdwa v81, v84, v9 dst_sel:DWORD dst_unused:UNUSED_PAD src0_sel:DWORD src1_sel:WORD_1
	v_fma_f16 v81, v31, v9, -v81
	v_mul_f16_sdwa v31, v31, v9 dst_sel:DWORD dst_unused:UNUSED_PAD src0_sel:DWORD src1_sel:WORD_1
	v_fma_f16 v31, v84, v9, v31
	v_mul_f16_sdwa v84, v85, v10 dst_sel:DWORD dst_unused:UNUSED_PAD src0_sel:DWORD src1_sel:WORD_1
	v_fma_f16 v84, v40, v10, -v84
	v_mul_f16_sdwa v40, v40, v10 dst_sel:DWORD dst_unused:UNUSED_PAD src0_sel:DWORD src1_sel:WORD_1
	v_fma_f16 v40, v85, v10, v40
	v_mul_f16_sdwa v85, v86, v11 dst_sel:DWORD dst_unused:UNUSED_PAD src0_sel:DWORD src1_sel:WORD_1
	v_fma_f16 v85, v35, v11, -v85
	v_mul_f16_sdwa v35, v35, v11 dst_sel:DWORD dst_unused:UNUSED_PAD src0_sel:DWORD src1_sel:WORD_1
	v_fma_f16 v35, v86, v11, v35
	;; [unrolled: 17-line block ×4, first 2 shown]
	s_waitcnt vmcnt(0)
	v_mul_f16_sdwa v145, v156, v20 dst_sel:DWORD dst_unused:UNUSED_PAD src0_sel:DWORD src1_sel:WORD_1
	v_fma_f16 v145, v49, v20, -v145
	v_mul_f16_sdwa v49, v49, v20 dst_sel:DWORD dst_unused:UNUSED_PAD src0_sel:DWORD src1_sel:WORD_1
	v_fma_f16 v49, v156, v20, v49
	v_mul_f16_sdwa v156, v157, v21 dst_sel:DWORD dst_unused:UNUSED_PAD src0_sel:DWORD src1_sel:WORD_1
	v_fma_f16 v156, v32, v21, -v156
	v_mul_f16_sdwa v32, v32, v21 dst_sel:DWORD dst_unused:UNUSED_PAD src0_sel:DWORD src1_sel:WORD_1
	v_fma_f16 v32, v157, v21, v32
	v_mul_f16_sdwa v157, v158, v22 dst_sel:DWORD dst_unused:UNUSED_PAD src0_sel:DWORD src1_sel:WORD_1
	v_add_f16_e32 v161, v53, v77
	v_fma_f16 v157, v51, v22, -v157
	v_mul_f16_sdwa v51, v51, v22 dst_sel:DWORD dst_unused:UNUSED_PAD src0_sel:DWORD src1_sel:WORD_1
	v_fma_f16 v161, v161, -0.5, v28
	v_sub_f16_e32 v162, v1, v34
	v_fma_f16 v51, v158, v22, v51
	v_mul_f16_sdwa v158, v159, v23 dst_sel:DWORD dst_unused:UNUSED_PAD src0_sel:DWORD src1_sel:WORD_1
	v_fma_f16 v163, v162, s3, v161
	v_sub_f16_e32 v164, v30, v33
	v_sub_f16_e32 v165, v160, v53
	;; [unrolled: 1-line block ×3, first 2 shown]
	v_fma_f16 v161, v162, s15, v161
	v_fma_f16 v158, v154, v23, -v158
	v_mul_f16_sdwa v154, v154, v23 dst_sel:DWORD dst_unused:UNUSED_PAD src0_sel:DWORD src1_sel:WORD_1
	v_fma_f16 v163, v164, s2, v163
	v_add_f16_e32 v165, v165, v166
	s_movk_i32 s14, 0x34f2
	v_fma_f16 v161, v164, s16, v161
	v_fma_f16 v154, v159, v23, v154
	v_add_f16_e32 v159, v28, v160
	v_fma_f16 v163, v165, s14, v163
	v_fma_f16 v161, v165, s14, v161
	v_add_f16_e32 v165, v160, v78
	v_lshrrev_b32_e32 v52, 16, v28
	v_add_f16_e32 v159, v159, v53
	v_fma_f16 v28, v165, -0.5, v28
	v_add_f16_e32 v159, v159, v77
	v_fma_f16 v165, v164, s15, v28
	v_fma_f16 v28, v164, s3, v28
	v_add_f16_e32 v164, v30, v33
	v_add_f16_e32 v159, v159, v78
	v_sub_f16_e32 v166, v53, v160
	v_sub_f16_e32 v167, v77, v78
	v_fma_f16 v164, v164, -0.5, v52
	v_sub_f16_e32 v78, v160, v78
	v_fma_f16 v165, v162, s2, v165
	v_add_f16_e32 v166, v166, v167
	v_fma_f16 v28, v162, s16, v28
	v_fma_f16 v160, v78, s15, v164
	v_sub_f16_e32 v53, v53, v77
	v_fma_f16 v165, v166, s14, v165
	v_fma_f16 v28, v166, s14, v28
	;; [unrolled: 1-line block ×3, first 2 shown]
	v_sub_f16_e32 v160, v1, v30
	v_sub_f16_e32 v166, v34, v33
	v_fma_f16 v164, v78, s3, v164
	v_add_f16_e32 v162, v52, v1
	v_add_f16_e32 v160, v160, v166
	v_fma_f16 v164, v53, s2, v164
	v_add_f16_e32 v162, v162, v30
	v_fma_f16 v77, v160, s14, v77
	v_fma_f16 v160, v160, s14, v164
	v_add_f16_e32 v164, v1, v34
	v_add_f16_e32 v162, v162, v33
	v_fma_f16 v52, v164, -0.5, v52
	v_add_f16_e32 v162, v162, v34
	v_fma_f16 v164, v53, s3, v52
	v_sub_f16_e32 v1, v30, v1
	v_sub_f16_e32 v30, v33, v34
	v_add_f16_e32 v34, v81, v84
	v_fma_f16 v164, v78, s16, v164
	v_add_f16_e32 v1, v1, v30
	v_fma_f16 v33, v53, s15, v52
	v_fma_f16 v34, v34, -0.5, v29
	v_sub_f16_e32 v52, v38, v35
	v_fma_f16 v30, v1, s14, v164
	v_fma_f16 v33, v78, s2, v33
	;; [unrolled: 1-line block ×3, first 2 shown]
	v_sub_f16_e32 v78, v31, v40
	v_sub_f16_e32 v164, v79, v81
	;; [unrolled: 1-line block ×3, first 2 shown]
	v_fma_f16 v34, v52, s15, v34
	v_fma_f16 v53, v78, s2, v53
	v_add_f16_e32 v164, v164, v166
	v_fma_f16 v34, v78, s16, v34
	v_fma_f16 v53, v164, s14, v53
	;; [unrolled: 1-line block ×3, first 2 shown]
	v_add_f16_e32 v164, v79, v85
	v_lshrrev_b32_e32 v80, 16, v29
	v_fma_f16 v1, v1, s14, v33
	v_add_f16_e32 v33, v29, v79
	v_fma_f16 v29, v164, -0.5, v29
	v_add_f16_e32 v33, v33, v81
	v_fma_f16 v164, v78, s15, v29
	v_fma_f16 v29, v78, s3, v29
	v_add_f16_e32 v78, v31, v40
	v_add_f16_e32 v33, v33, v84
	v_sub_f16_e32 v166, v81, v79
	v_sub_f16_e32 v167, v84, v85
	v_fma_f16 v78, v78, -0.5, v80
	v_sub_f16_e32 v79, v79, v85
	v_add_f16_e32 v33, v33, v85
	v_fma_f16 v164, v52, s2, v164
	v_add_f16_e32 v166, v166, v167
	v_fma_f16 v29, v52, s16, v29
	v_fma_f16 v85, v79, s15, v78
	v_sub_f16_e32 v81, v81, v84
	v_fma_f16 v164, v166, s14, v164
	v_fma_f16 v29, v166, s14, v29
	;; [unrolled: 1-line block ×3, first 2 shown]
	v_sub_f16_e32 v85, v38, v31
	v_sub_f16_e32 v166, v35, v40
	v_fma_f16 v78, v79, s3, v78
	ds_read2_b32 v[42:43], v109 offset0:126 offset1:189
	v_add_f16_e32 v52, v80, v38
	v_add_f16_e32 v85, v85, v166
	v_fma_f16 v78, v81, s2, v78
	v_add_f16_e32 v52, v52, v31
	v_fma_f16 v84, v85, s14, v84
	v_fma_f16 v78, v85, s14, v78
	v_add_f16_e32 v85, v38, v35
	v_add_f16_e32 v52, v52, v40
	v_fma_f16 v80, v85, -0.5, v80
	v_add_f16_e32 v52, v52, v35
	v_fma_f16 v85, v81, s3, v80
	v_sub_f16_e32 v31, v31, v38
	v_sub_f16_e32 v35, v40, v35
	v_fma_f16 v38, v81, s15, v80
	v_fma_f16 v85, v79, s16, v85
	v_add_f16_e32 v31, v31, v35
	v_fma_f16 v38, v79, s2, v38
	v_fma_f16 v35, v31, s14, v85
	;; [unrolled: 1-line block ×3, first 2 shown]
	s_waitcnt lgkmcnt(0)
	v_add_f16_e32 v38, v42, v86
	v_add_f16_e32 v38, v38, v88
	;; [unrolled: 1-line block ×5, first 2 shown]
	v_fma_f16 v38, v38, -0.5, v42
	v_sub_f16_e32 v79, v39, v46
	v_fma_f16 v80, v79, s3, v38
	v_sub_f16_e32 v81, v44, v41
	v_sub_f16_e32 v85, v86, v88
	;; [unrolled: 1-line block ×3, first 2 shown]
	v_fma_f16 v38, v79, s15, v38
	v_fma_f16 v80, v81, s2, v80
	v_add_f16_e32 v85, v85, v166
	v_fma_f16 v38, v81, s16, v38
	v_fma_f16 v80, v85, s14, v80
	;; [unrolled: 1-line block ×3, first 2 shown]
	v_add_f16_e32 v38, v86, v97
	v_fma_f16 v38, v38, -0.5, v42
	v_lshrrev_b32_e32 v87, 16, v42
	v_fma_f16 v42, v81, s15, v38
	v_sub_f16_e32 v166, v88, v86
	v_sub_f16_e32 v167, v89, v97
	v_fma_f16 v38, v81, s3, v38
	v_add_f16_e32 v166, v166, v167
	v_fma_f16 v38, v79, s16, v38
	v_fma_f16 v42, v79, s2, v42
	;; [unrolled: 1-line block ×3, first 2 shown]
	v_add_f16_e32 v38, v87, v39
	v_add_f16_e32 v38, v38, v44
	;; [unrolled: 1-line block ×5, first 2 shown]
	v_fma_f16 v38, v38, -0.5, v87
	v_sub_f16_e32 v86, v86, v97
	v_fma_f16 v97, v86, s15, v38
	v_sub_f16_e32 v88, v88, v89
	v_fma_f16 v42, v166, s14, v42
	v_fma_f16 v89, v88, s16, v97
	v_sub_f16_e32 v97, v39, v44
	v_sub_f16_e32 v166, v46, v41
	v_fma_f16 v38, v86, s3, v38
	v_add_f16_e32 v97, v97, v166
	v_fma_f16 v38, v88, s2, v38
	v_fma_f16 v166, v97, s14, v38
	v_add_f16_e32 v38, v39, v46
	v_fma_f16 v38, v38, -0.5, v87
	v_fma_f16 v87, v88, s3, v38
	v_sub_f16_e32 v39, v44, v39
	v_sub_f16_e32 v41, v41, v46
	v_fma_f16 v38, v88, s15, v38
	v_add_f16_e32 v39, v39, v41
	v_fma_f16 v38, v86, s2, v38
	v_fma_f16 v46, v39, s14, v38
	v_add_f16_e32 v38, v43, v104
	v_add_f16_e32 v38, v38, v106
	;; [unrolled: 1-line block ×3, first 2 shown]
	v_fma_f16 v87, v86, s16, v87
	v_add_f16_e32 v86, v38, v108
	v_add_f16_e32 v38, v106, v107
	v_fma_f16 v41, v39, s14, v87
	v_fma_f16 v38, v38, -0.5, v43
	v_sub_f16_e32 v39, v48, v47
	v_fma_f16 v89, v97, s14, v89
	v_fma_f16 v44, v39, s3, v38
	v_sub_f16_e32 v87, v45, v50
	v_sub_f16_e32 v88, v104, v106
	;; [unrolled: 1-line block ×3, first 2 shown]
	v_fma_f16 v38, v39, s15, v38
	v_fma_f16 v44, v87, s2, v44
	v_add_f16_e32 v88, v88, v97
	v_fma_f16 v38, v87, s16, v38
	v_fma_f16 v167, v88, s14, v44
	;; [unrolled: 1-line block ×3, first 2 shown]
	v_add_f16_e32 v38, v104, v108
	v_fma_f16 v38, v38, -0.5, v43
	v_lshrrev_b32_e32 v105, 16, v43
	v_fma_f16 v43, v87, s15, v38
	v_sub_f16_e32 v44, v106, v104
	v_sub_f16_e32 v97, v107, v108
	v_fma_f16 v38, v87, s3, v38
	v_add_f16_e32 v44, v44, v97
	v_fma_f16 v38, v39, s16, v38
	v_fma_f16 v87, v44, s14, v38
	v_add_f16_e32 v38, v105, v48
	v_add_f16_e32 v38, v38, v45
	;; [unrolled: 1-line block ×5, first 2 shown]
	v_fma_f16 v43, v39, s2, v43
	v_fma_f16 v38, v38, -0.5, v105
	v_sub_f16_e32 v39, v104, v108
	v_fma_f16 v43, v44, s14, v43
	v_fma_f16 v44, v39, s15, v38
	v_sub_f16_e32 v97, v106, v107
	v_sub_f16_e32 v104, v48, v45
	;; [unrolled: 1-line block ×3, first 2 shown]
	v_fma_f16 v38, v39, s3, v38
	v_add_f16_e32 v104, v104, v106
	v_fma_f16 v38, v97, s2, v38
	v_fma_f16 v108, v104, s14, v38
	v_add_f16_e32 v38, v48, v47
	v_fma_f16 v44, v97, s16, v44
	v_fma_f16 v38, v38, -0.5, v105
	v_fma_f16 v107, v104, s14, v44
	v_fma_f16 v44, v97, s3, v38
	v_sub_f16_e32 v45, v45, v48
	v_sub_f16_e32 v47, v50, v47
	v_fma_f16 v38, v97, s15, v38
	v_add_f16_e32 v45, v45, v47
	v_fma_f16 v38, v39, s2, v38
	v_fma_f16 v48, v45, s14, v38
	v_add_f16_e32 v38, v0, v145
	v_add_f16_e32 v38, v38, v156
	;; [unrolled: 1-line block ×3, first 2 shown]
	v_fma_f16 v44, v39, s16, v44
	v_add_f16_e32 v50, v38, v158
	v_add_f16_e32 v38, v156, v157
	v_fma_f16 v47, v45, s14, v44
	v_fma_f16 v39, v38, -0.5, v0
	v_sub_f16_e32 v44, v49, v154
	v_fma_f16 v38, v44, s3, v39
	v_sub_f16_e32 v97, v32, v51
	v_sub_f16_e32 v45, v145, v156
	;; [unrolled: 1-line block ×3, first 2 shown]
	v_fma_f16 v39, v44, s15, v39
	v_fma_f16 v38, v97, s2, v38
	v_add_f16_e32 v45, v45, v104
	v_fma_f16 v39, v97, s16, v39
	v_fma_f16 v38, v45, s14, v38
	;; [unrolled: 1-line block ×3, first 2 shown]
	v_add_f16_e32 v39, v145, v158
	v_lshrrev_b32_e32 v155, 16, v0
	v_fma_f16 v0, v39, -0.5, v0
	v_fma_f16 v39, v97, s15, v0
	v_sub_f16_e32 v104, v156, v145
	v_sub_f16_e32 v105, v157, v158
	v_fma_f16 v0, v97, s3, v0
	v_fma_f16 v39, v44, s2, v39
	v_add_f16_e32 v104, v104, v105
	v_fma_f16 v0, v44, s16, v0
	v_add_f16_e32 v97, v32, v51
	v_fma_f16 v39, v104, s14, v39
	v_fma_f16 v44, v104, s14, v0
	v_add_f16_e32 v0, v155, v49
	v_fma_f16 v104, v97, -0.5, v155
	v_sub_f16_e32 v106, v145, v158
	v_add_f16_e32 v0, v0, v32
	v_fma_f16 v97, v106, s15, v104
	v_sub_f16_e32 v145, v156, v157
	v_sub_f16_e32 v105, v49, v32
	;; [unrolled: 1-line block ×3, first 2 shown]
	v_fma_f16 v104, v106, s3, v104
	v_add_f16_e32 v0, v0, v51
	v_fma_f16 v97, v145, s16, v97
	v_add_f16_e32 v105, v105, v156
	v_fma_f16 v104, v145, s2, v104
	v_mul_u32_u24_e32 v26, 45, v26
	v_add_f16_e32 v0, v0, v154
	v_fma_f16 v97, v105, s14, v97
	v_fma_f16 v104, v105, s14, v104
	v_add_f16_e32 v105, v49, v154
	v_sub_f16_e32 v32, v32, v49
	v_sub_f16_e32 v49, v51, v154
	v_add_lshl_u32 v154, v26, v27, 2
	v_pack_b32_f16 v26, v159, v162
	v_pack_b32_f16 v27, v163, v77
	s_waitcnt lgkmcnt(0)
	; wave barrier
	ds_write2_b32 v154, v26, v27 offset1:9
	v_pack_b32_f16 v26, v165, v30
	v_pack_b32_f16 v1, v28, v1
	ds_write2_b32 v154, v26, v1 offset0:18 offset1:27
	v_pack_b32_f16 v1, v161, v160
	v_fma_f16 v155, v105, -0.5, v155
	ds_write_b32 v154, v1 offset:144
	v_mul_u32_u24_e32 v1, 45, v54
	v_fma_f16 v105, v145, s3, v155
	v_add_f16_e32 v32, v32, v49
	v_fma_f16 v49, v145, s15, v155
	v_add_lshl_u32 v155, v1, v55, 2
	v_pack_b32_f16 v1, v33, v52
	v_pack_b32_f16 v26, v53, v84
	ds_write2_b32 v155, v1, v26 offset1:9
	v_pack_b32_f16 v1, v164, v35
	v_pack_b32_f16 v26, v29, v31
	ds_write2_b32 v155, v1, v26 offset0:18 offset1:27
	v_pack_b32_f16 v1, v34, v78
	ds_write_b32 v155, v1 offset:144
	v_mul_u32_u24_e32 v1, 45, v82
	v_add_lshl_u32 v156, v1, v83, 2
	v_pack_b32_f16 v1, v40, v81
	v_pack_b32_f16 v26, v80, v89
	ds_write2_b32 v156, v1, v26 offset1:9
	v_pack_b32_f16 v1, v42, v41
	v_pack_b32_f16 v26, v79, v46
	ds_write2_b32 v156, v1, v26 offset0:18 offset1:27
	v_pack_b32_f16 v1, v85, v166
	ds_write_b32 v156, v1 offset:144
	v_mul_u32_u24_e32 v1, 45, v90
	v_add_lshl_u32 v157, v1, v98, 2
	v_pack_b32_f16 v1, v86, v168
	v_pack_b32_f16 v26, v167, v107
	ds_write2_b32 v157, v1, v26 offset1:9
	v_pack_b32_f16 v1, v43, v47
	v_pack_b32_f16 v26, v87, v48
	ds_write2_b32 v157, v1, v26 offset0:18 offset1:27
	v_pack_b32_f16 v1, v88, v108
	v_fma_f16 v105, v106, s16, v105
	v_fma_f16 v49, v106, s2, v49
	ds_write_b32 v157, v1 offset:144
	v_mad_legacy_u16 v1, v101, 45, v102
	v_fma_f16 v105, v32, s14, v105
	v_fma_f16 v106, v32, s14, v49
	v_lshlrev_b32_e32 v158, 2, v1
	v_pack_b32_f16 v0, v50, v0
	v_pack_b32_f16 v1, v38, v97
	ds_write2_b32 v158, v0, v1 offset1:9
	v_pack_b32_f16 v0, v39, v105
	v_pack_b32_f16 v1, v44, v106
	ds_write2_b32 v158, v0, v1 offset0:18 offset1:27
	v_pack_b32_f16 v0, v45, v104
	ds_write_b32 v158, v0 offset:144
	s_waitcnt lgkmcnt(0)
	; wave barrier
	s_waitcnt lgkmcnt(0)
	ds_read2_b32 v[42:43], v109 offset1:63
	ds_read2_b32 v[40:41], v109 offset0:126 offset1:225
	ds_read2_b32 v[89:90], v100 offset0:66 offset1:129
	;; [unrolled: 1-line block ×9, first 2 shown]
	ds_read_b32 v107, v109 offset:5904
	v_cmp_gt_u16_e64 s[2:3], 36, v132
                                        ; implicit-def: $vgpr108
                                        ; implicit-def: $vgpr159
	s_and_saveexec_b64 s[14:15], s[2:3]
	s_cbranch_execz .LBB0_13
; %bb.12:
	v_add_u32_e32 v0, 0x280, v109
	ds_read2_b32 v[38:39], v0 offset0:29 offset1:254
	v_add_u32_e32 v0, 0x9c0, v109
	v_add_u32_e32 v1, 0x1100, v109
	ds_read2_b32 v[44:45], v0 offset0:15 offset1:240
	ds_read2_b32 v[36:37], v1 offset0:1 offset1:226
	ds_read_b32 v108, v109 offset:6156
	s_waitcnt lgkmcnt(3)
	v_lshrrev_b32_e32 v97, 16, v38
	v_lshrrev_b32_e32 v105, 16, v39
	s_waitcnt lgkmcnt(2)
	v_lshrrev_b32_e32 v106, 16, v44
	v_lshrrev_b32_e32 v104, 16, v45
	;; [unrolled: 3-line block ×3, first 2 shown]
	s_waitcnt lgkmcnt(0)
	v_lshrrev_b32_e32 v159, 16, v108
.LBB0_13:
	s_or_b64 exec, exec, s[14:15]
	v_subrev_u32_e32 v0, 45, v132
	v_cmp_gt_u16_e32 vcc, 45, v132
	v_cndmask_b32_e32 v98, v0, v132, vcc
	v_mul_i32_i24_e32 v0, 24, v98
	v_mul_hi_i32_i24_e32 v1, 24, v98
	v_mov_b32_e32 v2, s5
	v_add_co_u32_e32 v0, vcc, s4, v0
	v_addc_co_u32_e32 v1, vcc, v2, v1, vcc
	s_movk_i32 s16, 0x6d
	global_load_dwordx4 v[24:27], v[0:1], off offset:168
	global_load_dwordx2 v[79:80], v[0:1], off offset:184
	v_mul_lo_u16_sdwa v0, v94, s16 dst_sel:DWORD dst_unused:UNUSED_PAD src0_sel:BYTE_0 src1_sel:DWORD
	v_sub_u16_sdwa v1, v94, v0 dst_sel:DWORD dst_unused:UNUSED_PAD src0_sel:DWORD src1_sel:BYTE_1
	v_lshrrev_b16_e32 v1, 1, v1
	v_and_b32_e32 v1, 0x7f, v1
	v_add_u16_sdwa v0, v1, v0 dst_sel:DWORD dst_unused:UNUSED_PAD src0_sel:DWORD src1_sel:BYTE_1
	v_lshrrev_b16_e32 v99, 5, v0
	v_mul_lo_u16_e32 v0, 45, v99
	v_sub_u16_e32 v0, v94, v0
	v_and_b32_e32 v100, 0xff, v0
	v_mad_u64_u32 v[0:1], s[14:15], v100, 24, s[4:5]
	v_mul_lo_u16_sdwa v2, v93, s16 dst_sel:DWORD dst_unused:UNUSED_PAD src0_sel:BYTE_0 src1_sel:DWORD
	v_sub_u16_sdwa v3, v93, v2 dst_sel:DWORD dst_unused:UNUSED_PAD src0_sel:DWORD src1_sel:BYTE_1
	global_load_dwordx4 v[28:31], v[0:1], off offset:168
	global_load_dwordx2 v[81:82], v[0:1], off offset:184
	v_lshrrev_b16_e32 v3, 1, v3
	v_and_b32_e32 v3, 0x7f, v3
	v_add_u16_sdwa v2, v3, v2 dst_sel:DWORD dst_unused:UNUSED_PAD src0_sel:DWORD src1_sel:BYTE_1
	v_lshrrev_b16_e32 v101, 5, v2
	v_mul_lo_u16_e32 v2, 45, v101
	v_sub_u16_e32 v0, v93, v2
	v_and_b32_e32 v102, 0xff, v0
	v_mad_u64_u32 v[0:1], s[14:15], v102, 24, s[4:5]
	v_mul_lo_u16_sdwa v2, v92, s16 dst_sel:DWORD dst_unused:UNUSED_PAD src0_sel:BYTE_0 src1_sel:DWORD
	v_sub_u16_sdwa v3, v92, v2 dst_sel:DWORD dst_unused:UNUSED_PAD src0_sel:DWORD src1_sel:BYTE_1
	global_load_dwordx4 v[32:35], v[0:1], off offset:168
	global_load_dwordx2 v[83:84], v[0:1], off offset:184
	v_lshrrev_b16_e32 v3, 1, v3
	v_and_b32_e32 v3, 0x7f, v3
	v_add_u16_sdwa v2, v3, v2 dst_sel:DWORD dst_unused:UNUSED_PAD src0_sel:DWORD src1_sel:BYTE_1
	v_lshrrev_b16_e32 v2, 5, v2
	v_mul_lo_u16_e32 v2, 45, v2
	v_sub_u16_e32 v145, v92, v2
	v_and_b32_e32 v103, 0xff, v145
	v_mad_u64_u32 v[77:78], s[14:15], v103, 24, s[4:5]
	s_waitcnt lgkmcnt(9)
	v_lshrrev_b32_e32 v160, 16, v41
	s_waitcnt lgkmcnt(3)
	v_lshrrev_b32_e32 v166, 16, v54
	global_load_dwordx4 v[0:3], v[77:78], off offset:168
	v_lshrrev_b32_e32 v167, 16, v90
	global_load_dwordx2 v[77:78], v[77:78], off offset:184
	s_waitcnt lgkmcnt(2)
	v_lshrrev_b32_e32 v168, 16, v52
	v_lshrrev_b32_e32 v169, 16, v88
	s_waitcnt lgkmcnt(1)
	v_lshrrev_b32_e32 v170, 16, v50
	v_lshrrev_b32_e32 v171, 16, v86
	;; [unrolled: 1-line block ×7, first 2 shown]
	s_waitcnt lgkmcnt(0)
	v_lshrrev_b32_e32 v177, 16, v107
	v_lshrrev_b32_e32 v161, 16, v89
	v_lshrrev_b32_e32 v164, 16, v47
	v_lshrrev_b32_e32 v165, 16, v85
	v_lshrrev_b32_e32 v162, 16, v49
	v_lshrrev_b32_e32 v163, 16, v87
	s_movk_i32 s15, 0x2b26
	s_movk_i32 s14, 0x3b00
	s_mov_b32 s16, 0xbcab
	s_movk_i32 s18, 0x39e0
	s_mov_b32 s20, 0xb9e0
	;; [unrolled: 2-line block ×3, first 2 shown]
	s_movk_i32 s19, 0x370e
	v_cmp_lt_u16_e32 vcc, 44, v132
	s_waitcnt lgkmcnt(0)
	; wave barrier
	s_waitcnt vmcnt(7)
	v_mul_f16_sdwa v178, v160, v24 dst_sel:DWORD dst_unused:UNUSED_PAD src0_sel:DWORD src1_sel:WORD_1
	v_mul_f16_sdwa v179, v41, v24 dst_sel:DWORD dst_unused:UNUSED_PAD src0_sel:DWORD src1_sel:WORD_1
	v_fma_f16 v41, v41, v24, -v178
	v_mul_f16_sdwa v180, v161, v25 dst_sel:DWORD dst_unused:UNUSED_PAD src0_sel:DWORD src1_sel:WORD_1
	v_mul_f16_sdwa v181, v89, v25 dst_sel:DWORD dst_unused:UNUSED_PAD src0_sel:DWORD src1_sel:WORD_1
	s_waitcnt vmcnt(6)
	v_mul_f16_sdwa v186, v164, v79 dst_sel:DWORD dst_unused:UNUSED_PAD src0_sel:DWORD src1_sel:WORD_1
	v_mul_f16_sdwa v187, v47, v79 dst_sel:DWORD dst_unused:UNUSED_PAD src0_sel:DWORD src1_sel:WORD_1
	;; [unrolled: 1-line block ×8, first 2 shown]
	v_fma_f16 v160, v160, v24, v179
	v_fma_f16 v89, v89, v25, -v180
	s_waitcnt vmcnt(5)
	v_mul_f16_sdwa v178, v166, v28 dst_sel:DWORD dst_unused:UNUSED_PAD src0_sel:DWORD src1_sel:WORD_1
	v_fma_f16 v178, v54, v28, -v178
	v_mul_f16_sdwa v54, v54, v28 dst_sel:DWORD dst_unused:UNUSED_PAD src0_sel:DWORD src1_sel:WORD_1
	v_fma_f16 v54, v166, v28, v54
	v_mul_f16_sdwa v166, v167, v29 dst_sel:DWORD dst_unused:UNUSED_PAD src0_sel:DWORD src1_sel:WORD_1
	v_fma_f16 v166, v90, v29, -v166
	v_mul_f16_sdwa v90, v90, v29 dst_sel:DWORD dst_unused:UNUSED_PAD src0_sel:DWORD src1_sel:WORD_1
	v_fma_f16 v90, v167, v29, v90
	;; [unrolled: 4-line block ×4, first 2 shown]
	s_waitcnt vmcnt(4)
	v_mul_f16_sdwa v169, v170, v81 dst_sel:DWORD dst_unused:UNUSED_PAD src0_sel:DWORD src1_sel:WORD_1
	v_fma_f16 v169, v50, v81, -v169
	v_mul_f16_sdwa v50, v50, v81 dst_sel:DWORD dst_unused:UNUSED_PAD src0_sel:DWORD src1_sel:WORD_1
	v_fma_f16 v50, v170, v81, v50
	v_mul_f16_sdwa v170, v171, v82 dst_sel:DWORD dst_unused:UNUSED_PAD src0_sel:DWORD src1_sel:WORD_1
	v_fma_f16 v170, v86, v82, -v170
	v_mul_f16_sdwa v86, v86, v82 dst_sel:DWORD dst_unused:UNUSED_PAD src0_sel:DWORD src1_sel:WORD_1
	v_fma_f16 v86, v171, v82, v86
	s_waitcnt vmcnt(3)
	v_mul_f16_sdwa v171, v172, v32 dst_sel:DWORD dst_unused:UNUSED_PAD src0_sel:DWORD src1_sel:WORD_1
	v_fma_f16 v171, v55, v32, -v171
	v_mul_f16_sdwa v55, v55, v32 dst_sel:DWORD dst_unused:UNUSED_PAD src0_sel:DWORD src1_sel:WORD_1
	v_fma_f16 v55, v172, v32, v55
	v_mul_f16_sdwa v172, v173, v33 dst_sel:DWORD dst_unused:UNUSED_PAD src0_sel:DWORD src1_sel:WORD_1
	v_fma_f16 v172, v48, v33, -v172
	v_mul_f16_sdwa v48, v48, v33 dst_sel:DWORD dst_unused:UNUSED_PAD src0_sel:DWORD src1_sel:WORD_1
	v_fma_f16 v48, v173, v33, v48
	v_mul_f16_sdwa v173, v174, v34 dst_sel:DWORD dst_unused:UNUSED_PAD src0_sel:DWORD src1_sel:WORD_1
	v_fma_f16 v173, v53, v34, -v173
	v_mul_f16_sdwa v53, v53, v34 dst_sel:DWORD dst_unused:UNUSED_PAD src0_sel:DWORD src1_sel:WORD_1
	v_fma_f16 v53, v174, v34, v53
	v_mul_f16_sdwa v174, v175, v35 dst_sel:DWORD dst_unused:UNUSED_PAD src0_sel:DWORD src1_sel:WORD_1
	v_fma_f16 v174, v46, v35, -v174
	v_mul_f16_sdwa v46, v46, v35 dst_sel:DWORD dst_unused:UNUSED_PAD src0_sel:DWORD src1_sel:WORD_1
	v_fma_f16 v46, v175, v35, v46
	s_waitcnt vmcnt(2)
	v_mul_f16_sdwa v175, v176, v83 dst_sel:DWORD dst_unused:UNUSED_PAD src0_sel:DWORD src1_sel:WORD_1
	v_fma_f16 v175, v51, v83, -v175
	v_mul_f16_sdwa v51, v51, v83 dst_sel:DWORD dst_unused:UNUSED_PAD src0_sel:DWORD src1_sel:WORD_1
	v_fma_f16 v51, v176, v83, v51
	v_mul_f16_sdwa v176, v177, v84 dst_sel:DWORD dst_unused:UNUSED_PAD src0_sel:DWORD src1_sel:WORD_1
	v_fma_f16 v176, v107, v84, -v176
	v_mul_f16_sdwa v107, v107, v84 dst_sel:DWORD dst_unused:UNUSED_PAD src0_sel:DWORD src1_sel:WORD_1
	v_fma_f16 v107, v177, v84, v107
	s_waitcnt vmcnt(1)
	v_mul_f16_sdwa v177, v105, v0 dst_sel:DWORD dst_unused:UNUSED_PAD src0_sel:DWORD src1_sel:WORD_1
	v_fma_f16 v177, v39, v0, -v177
	v_mul_f16_sdwa v39, v39, v0 dst_sel:DWORD dst_unused:UNUSED_PAD src0_sel:DWORD src1_sel:WORD_1
	v_fma_f16 v39, v105, v0, v39
	v_mul_f16_sdwa v105, v106, v1 dst_sel:DWORD dst_unused:UNUSED_PAD src0_sel:DWORD src1_sel:WORD_1
	v_fma_f16 v105, v44, v1, -v105
	v_mul_f16_sdwa v44, v44, v1 dst_sel:DWORD dst_unused:UNUSED_PAD src0_sel:DWORD src1_sel:WORD_1
	v_fma_f16 v44, v106, v1, v44
	;; [unrolled: 4-line block ×4, first 2 shown]
	s_waitcnt vmcnt(0)
	v_mul_f16_sdwa v96, v95, v77 dst_sel:DWORD dst_unused:UNUSED_PAD src0_sel:DWORD src1_sel:WORD_1
	v_fma_f16 v96, v37, v77, -v96
	v_mul_f16_sdwa v37, v37, v77 dst_sel:DWORD dst_unused:UNUSED_PAD src0_sel:DWORD src1_sel:WORD_1
	v_fma_f16 v37, v95, v77, v37
	v_mul_f16_sdwa v95, v159, v78 dst_sel:DWORD dst_unused:UNUSED_PAD src0_sel:DWORD src1_sel:WORD_1
	v_fma_f16 v161, v161, v25, v181
	v_fma_f16 v47, v47, v79, -v186
	v_fma_f16 v164, v164, v79, v187
	v_fma_f16 v85, v85, v80, -v188
	;; [unrolled: 2-line block ×3, first 2 shown]
	v_mul_f16_sdwa v108, v108, v78 dst_sel:DWORD dst_unused:UNUSED_PAD src0_sel:DWORD src1_sel:WORD_1
	v_fma_f16 v49, v49, v26, -v182
	v_fma_f16 v162, v162, v26, v183
	v_fma_f16 v87, v87, v27, -v184
	v_fma_f16 v163, v163, v27, v185
	v_fma_f16 v108, v159, v78, v108
	v_add_f16_e32 v159, v41, v85
	v_add_f16_e32 v179, v160, v165
	v_sub_f16_e32 v41, v41, v85
	v_sub_f16_e32 v85, v160, v165
	v_add_f16_e32 v160, v89, v47
	v_add_f16_e32 v165, v161, v164
	v_sub_f16_e32 v47, v89, v47
	v_sub_f16_e32 v89, v161, v164
	;; [unrolled: 4-line block ×4, first 2 shown]
	v_sub_f16_e32 v159, v159, v161
	v_sub_f16_e32 v179, v179, v164
	;; [unrolled: 1-line block ×4, first 2 shown]
	v_add_f16_e32 v182, v49, v47
	v_add_f16_e32 v183, v87, v89
	v_sub_f16_e32 v184, v49, v47
	v_sub_f16_e32 v185, v87, v89
	;; [unrolled: 1-line block ×4, first 2 shown]
	v_add_f16_e32 v161, v161, v162
	v_add_f16_e32 v162, v164, v163
	v_sub_f16_e32 v49, v41, v49
	v_sub_f16_e32 v87, v85, v87
	v_add_f16_e32 v41, v182, v41
	v_add_f16_e32 v85, v183, v85
	;; [unrolled: 1-line block ×3, first 2 shown]
	v_add_f16_sdwa v182, v42, v162 dst_sel:DWORD dst_unused:UNUSED_PAD src0_sel:WORD_1 src1_sel:DWORD
	v_mul_f16_e32 v42, 0x3a52, v159
	v_mul_f16_e32 v159, 0x3a52, v179
	;; [unrolled: 1-line block ×8, first 2 shown]
	v_fma_f16 v161, v161, s16, v163
	v_fma_f16 v162, v162, s16, v182
	;; [unrolled: 1-line block ×4, first 2 shown]
	v_fma_f16 v164, v180, s18, -v164
	v_fma_f16 v179, v181, s18, -v179
	;; [unrolled: 1-line block ×4, first 2 shown]
	v_fma_f16 v180, v49, s21, v183
	v_fma_f16 v181, v87, s21, v184
	v_fma_f16 v47, v47, s14, -v183
	v_fma_f16 v49, v49, s22, -v185
	;; [unrolled: 1-line block ×4, first 2 shown]
	v_add_f16_e32 v160, v160, v161
	v_add_f16_e32 v164, v164, v161
	;; [unrolled: 1-line block ×4, first 2 shown]
	v_fma_f16 v161, v41, s19, v180
	v_fma_f16 v47, v41, s19, v47
	;; [unrolled: 1-line block ×4, first 2 shown]
	v_add_f16_e32 v165, v165, v162
	v_add_f16_e32 v179, v179, v162
	v_fma_f16 v162, v85, s19, v181
	v_fma_f16 v89, v85, s19, v89
	v_add_f16_e32 v180, v49, v42
	v_sub_f16_e32 v181, v159, v41
	v_sub_f16_e32 v185, v42, v49
	v_add_f16_e32 v186, v41, v159
	v_add_f16_e32 v41, v178, v170
	;; [unrolled: 1-line block ×3, first 2 shown]
	v_sub_f16_e32 v49, v54, v86
	v_add_f16_e32 v54, v166, v169
	v_add_f16_e32 v86, v90, v50
	;; [unrolled: 1-line block ×3, first 2 shown]
	v_sub_f16_e32 v87, v165, v161
	v_sub_f16_e32 v183, v164, v89
	v_add_f16_e32 v184, v47, v179
	v_add_f16_e32 v89, v89, v164
	v_sub_f16_e32 v179, v179, v47
	v_sub_f16_e32 v162, v160, v162
	v_add_f16_e32 v187, v161, v165
	v_sub_f16_e32 v47, v178, v170
	v_sub_f16_e32 v159, v166, v169
	;; [unrolled: 1-line block ×3, first 2 shown]
	v_add_f16_e32 v90, v167, v168
	v_add_f16_e32 v160, v52, v88
	v_sub_f16_e32 v161, v168, v167
	v_sub_f16_e32 v52, v88, v52
	v_add_f16_e32 v88, v54, v41
	v_add_f16_e32 v164, v86, v42
	v_sub_f16_e32 v165, v54, v41
	v_sub_f16_e32 v166, v86, v42
	;; [unrolled: 1-line block ×6, first 2 shown]
	v_add_f16_e32 v167, v161, v159
	v_add_f16_e32 v168, v52, v50
	v_sub_f16_e32 v169, v161, v159
	v_sub_f16_e32 v170, v52, v50
	;; [unrolled: 1-line block ×4, first 2 shown]
	v_add_f16_e32 v88, v90, v88
	v_add_f16_e32 v90, v160, v164
	v_sub_f16_e32 v161, v47, v161
	v_sub_f16_e32 v52, v49, v52
	v_add_f16_e32 v47, v167, v47
	v_add_f16_e32 v49, v168, v49
	;; [unrolled: 1-line block ×3, first 2 shown]
	v_add_f16_sdwa v178, v43, v90 dst_sel:DWORD dst_unused:UNUSED_PAD src0_sel:WORD_1 src1_sel:DWORD
	v_mul_f16_e32 v41, 0x3a52, v41
	v_mul_f16_e32 v42, 0x3a52, v42
	;; [unrolled: 1-line block ×8, first 2 shown]
	v_fma_f16 v88, v88, s16, v168
	v_fma_f16 v90, v90, s16, v178
	;; [unrolled: 1-line block ×4, first 2 shown]
	v_fma_f16 v43, v165, s18, -v43
	v_fma_f16 v160, v166, s18, -v160
	;; [unrolled: 1-line block ×4, first 2 shown]
	v_fma_f16 v165, v161, s21, v164
	v_fma_f16 v166, v52, s21, v167
	v_fma_f16 v159, v159, s14, -v164
	v_fma_f16 v50, v50, s14, -v167
	;; [unrolled: 1-line block ×4, first 2 shown]
	v_add_f16_e32 v54, v54, v88
	v_add_f16_e32 v86, v86, v90
	;; [unrolled: 1-line block ×6, first 2 shown]
	v_fma_f16 v88, v47, s19, v165
	v_fma_f16 v90, v49, s19, v166
	;; [unrolled: 1-line block ×6, first 2 shown]
	v_add_f16_e32 v170, v49, v41
	v_sub_f16_e32 v188, v42, v47
	v_sub_f16_e32 v192, v41, v49
	v_add_f16_e32 v193, v47, v42
	v_add_f16_e32 v41, v171, v176
	;; [unrolled: 1-line block ×3, first 2 shown]
	v_sub_f16_e32 v47, v55, v107
	v_add_f16_e32 v49, v172, v175
	v_add_f16_e32 v55, v48, v51
	;; [unrolled: 1-line block ×3, first 2 shown]
	v_sub_f16_e32 v169, v86, v88
	v_sub_f16_e32 v189, v43, v50
	v_add_f16_e32 v190, v159, v160
	v_add_f16_e32 v50, v50, v43
	v_sub_f16_e32 v191, v160, v159
	v_sub_f16_e32 v54, v54, v90
	v_add_f16_e32 v86, v88, v86
	v_sub_f16_e32 v43, v171, v176
	v_sub_f16_e32 v88, v172, v175
	;; [unrolled: 1-line block ×3, first 2 shown]
	v_add_f16_e32 v51, v173, v174
	v_add_f16_e32 v90, v53, v46
	v_sub_f16_e32 v107, v174, v173
	v_sub_f16_e32 v46, v46, v53
	v_add_f16_e32 v53, v49, v41
	v_add_f16_e32 v159, v55, v42
	v_sub_f16_e32 v160, v49, v41
	v_sub_f16_e32 v161, v55, v42
	;; [unrolled: 1-line block ×6, first 2 shown]
	v_add_f16_e32 v164, v107, v88
	v_add_f16_e32 v165, v46, v48
	v_sub_f16_e32 v166, v107, v88
	v_sub_f16_e32 v167, v46, v48
	;; [unrolled: 1-line block ×4, first 2 shown]
	v_add_f16_e32 v51, v51, v53
	v_add_f16_e32 v53, v90, v159
	v_sub_f16_e32 v107, v43, v107
	v_sub_f16_e32 v46, v47, v46
	v_add_f16_e32 v43, v164, v43
	v_add_f16_e32 v47, v165, v47
	;; [unrolled: 1-line block ×3, first 2 shown]
	v_add_f16_sdwa v171, v40, v53 dst_sel:DWORD dst_unused:UNUSED_PAD src0_sel:WORD_1 src1_sel:DWORD
	v_mul_f16_e32 v40, 0x3a52, v41
	v_mul_f16_e32 v41, 0x3a52, v42
	;; [unrolled: 1-line block ×8, first 2 shown]
	v_fma_f16 v51, v51, s16, v90
	v_fma_f16 v53, v53, s16, v171
	;; [unrolled: 1-line block ×4, first 2 shown]
	v_fma_f16 v42, v160, s18, -v42
	v_fma_f16 v159, v161, s18, -v159
	;; [unrolled: 1-line block ×4, first 2 shown]
	v_fma_f16 v160, v107, s21, v164
	v_fma_f16 v161, v46, s21, v165
	v_fma_f16 v88, v88, s14, -v164
	v_fma_f16 v107, v107, s22, -v166
	;; [unrolled: 1-line block ×4, first 2 shown]
	v_add_f16_e32 v49, v49, v51
	v_add_f16_e32 v42, v42, v51
	;; [unrolled: 1-line block ×4, first 2 shown]
	v_fma_f16 v51, v43, s19, v160
	v_fma_f16 v88, v43, s19, v88
	;; [unrolled: 1-line block ×4, first 2 shown]
	v_add_f16_e32 v55, v55, v53
	v_add_f16_e32 v159, v159, v53
	v_fma_f16 v53, v47, s19, v161
	v_fma_f16 v48, v47, s19, v48
	v_add_f16_e32 v173, v46, v40
	v_sub_f16_e32 v174, v41, v43
	v_sub_f16_e32 v195, v40, v46
	v_add_f16_e32 v196, v43, v41
	v_add_f16_e32 v40, v177, v95
	;; [unrolled: 1-line block ×6, first 2 shown]
	v_sub_f16_e32 v172, v55, v51
	v_sub_f16_e32 v175, v42, v48
	v_add_f16_e32 v194, v48, v42
	v_sub_f16_e32 v53, v49, v53
	v_add_f16_e32 v51, v51, v55
	v_sub_f16_e32 v42, v177, v95
	v_sub_f16_e32 v39, v39, v108
	;; [unrolled: 1-line block ×4, first 2 shown]
	v_add_f16_e32 v44, v106, v104
	v_add_f16_e32 v48, v45, v36
	v_sub_f16_e32 v49, v104, v106
	v_sub_f16_e32 v36, v36, v45
	v_add_f16_e32 v45, v43, v40
	v_add_f16_e32 v55, v46, v41
	v_sub_f16_e32 v95, v43, v40
	v_sub_f16_e32 v96, v46, v41
	;; [unrolled: 1-line block ×6, first 2 shown]
	v_add_f16_e32 v104, v49, v47
	v_add_f16_e32 v105, v36, v37
	v_sub_f16_e32 v106, v49, v47
	v_sub_f16_e32 v108, v36, v37
	v_sub_f16_e32 v47, v47, v42
	v_sub_f16_e32 v160, v37, v39
	v_add_f16_e32 v44, v44, v45
	v_add_f16_e32 v45, v48, v55
	;; [unrolled: 1-line block ×3, first 2 shown]
	v_sub_f16_e32 v88, v159, v88
	v_sub_f16_e32 v49, v42, v49
	;; [unrolled: 1-line block ×3, first 2 shown]
	v_add_f16_e32 v48, v104, v42
	v_add_f16_e32 v55, v105, v39
	;; [unrolled: 1-line block ×4, first 2 shown]
	v_mul_f16_e32 v38, 0x3a52, v40
	v_mul_f16_e32 v39, 0x3a52, v41
	;; [unrolled: 1-line block ×8, first 2 shown]
	v_fma_f16 v106, v44, s16, v36
	v_fma_f16 v45, v45, s16, v37
	;; [unrolled: 1-line block ×4, first 2 shown]
	v_fma_f16 v40, v95, s18, -v40
	v_fma_f16 v41, v96, s18, -v41
	;; [unrolled: 1-line block ×4, first 2 shown]
	v_fma_f16 v96, v49, s21, v42
	v_fma_f16 v108, v159, s21, v97
	v_fma_f16 v47, v47, s14, -v42
	v_fma_f16 v97, v160, s14, -v97
	;; [unrolled: 1-line block ×4, first 2 shown]
	v_add_f16_e32 v38, v43, v106
	v_add_f16_e32 v39, v44, v45
	;; [unrolled: 1-line block ×4, first 2 shown]
	v_fma_f16 v42, v48, s19, v96
	v_fma_f16 v43, v55, s19, v108
	;; [unrolled: 1-line block ×6, first 2 shown]
	v_mov_b32_e32 v55, 0x13b
	v_cndmask_b32_e32 v55, 0, v55, vcc
	v_add_lshl_u32 v161, v98, v55, 2
	v_pack_b32_f16 v55, v163, v182
	v_pack_b32_f16 v85, v85, v87
	ds_write2_b32 v161, v55, v85 offset1:45
	v_pack_b32_f16 v55, v180, v181
	v_pack_b32_f16 v85, v183, v184
	ds_write2_b32 v161, v55, v85 offset0:90 offset1:135
	v_pack_b32_f16 v55, v89, v179
	v_pack_b32_f16 v85, v185, v186
	ds_write2_b32 v161, v55, v85 offset0:180 offset1:225
	v_pack_b32_f16 v55, v162, v187
	ds_write_b32 v161, v55 offset:1080
	v_mul_u32_u24_e32 v55, 0x13b, v99
	v_add_lshl_u32 v162, v55, v100, 2
	v_pack_b32_f16 v55, v168, v178
	v_pack_b32_f16 v52, v52, v169
	ds_write2_b32 v162, v55, v52 offset1:45
	v_pack_b32_f16 v52, v170, v188
	v_pack_b32_f16 v55, v189, v190
	ds_write2_b32 v162, v52, v55 offset0:90 offset1:135
	v_pack_b32_f16 v50, v50, v191
	v_pack_b32_f16 v52, v192, v193
	ds_write2_b32 v162, v50, v52 offset0:180 offset1:225
	v_pack_b32_f16 v50, v54, v86
	ds_write_b32 v162, v50 offset:1080
	v_mul_u32_u24_e32 v50, 0x13b, v101
	v_add_lshl_u32 v163, v50, v102, 2
	v_pack_b32_f16 v50, v90, v171
	v_pack_b32_f16 v52, v107, v172
	ds_write2_b32 v163, v50, v52 offset1:45
	v_pack_b32_f16 v50, v173, v174
	v_pack_b32_f16 v52, v175, v176
	v_add_f16_e32 v40, v40, v106
	v_add_f16_e32 v45, v95, v45
	ds_write2_b32 v163, v50, v52 offset0:90 offset1:135
	v_pack_b32_f16 v50, v194, v88
	v_pack_b32_f16 v52, v195, v196
	v_add_f16_e32 v164, v47, v40
	v_sub_f16_e32 v166, v44, v46
	v_sub_f16_e32 v165, v41, v49
	v_add_f16_e32 v167, v48, v45
	v_sub_f16_e32 v159, v38, v43
	v_add_f16_e32 v160, v42, v39
	ds_write2_b32 v163, v50, v52 offset0:180 offset1:225
	v_pack_b32_f16 v50, v53, v51
	ds_write_b32 v163, v50 offset:1080
	s_and_saveexec_b64 s[14:15], s[2:3]
	s_cbranch_execz .LBB0_15
; %bb.14:
	v_sub_f16_e32 v39, v39, v42
	v_add_f16_e32 v38, v43, v38
	v_lshlrev_b32_e32 v42, 2, v103
	s_mov_b32 s16, 0x5040100
	v_add_f16_e32 v44, v46, v44
	v_sub_f16_e32 v40, v40, v47
	v_sub_f16_e32 v45, v45, v48
	v_add_f16_e32 v41, v49, v41
	v_perm_b32 v36, v37, v36, s16
	v_pack_b32_f16 v37, v38, v39
	v_add_u32_e32 v38, 0x1200, v42
	ds_write2_b32 v38, v36, v37 offset0:108 offset1:153
	v_pack_b32_f16 v36, v41, v45
	v_pack_b32_f16 v37, v40, v44
	v_add_u32_e32 v38, 0x1400, v42
	ds_write2_b32 v38, v36, v37 offset0:70 offset1:115
	v_perm_b32 v36, v166, v164, s16
	v_perm_b32 v37, v167, v165, s16
	ds_write2_b32 v38, v36, v37 offset0:160 offset1:205
	v_perm_b32 v36, v160, v159, s16
	ds_write_b32 v42, v36 offset:6120
.LBB0_15:
	s_or_b64 exec, exec, s[14:15]
	v_lshlrev_b32_e32 v36, 4, v132
	s_waitcnt lgkmcnt(0)
	; wave barrier
	s_waitcnt lgkmcnt(0)
	global_load_dwordx4 v[36:39], v36, s[4:5] offset:1248
	v_lshlrev_b32_e32 v40, 4, v94
	global_load_dwordx4 v[40:43], v40, s[4:5] offset:1248
	v_lshlrev_b32_e32 v44, 4, v93
	global_load_dwordx4 v[44:47], v44, s[4:5] offset:1248
	v_add_u32_e32 v88, 0x200, v109
	v_lshlrev_b32_e32 v49, 4, v92
	ds_read2_b32 v[85:86], v109 offset1:63
	v_add_u32_e32 v90, 0x800, v109
	v_add_u32_e32 v87, 0xc00, v109
	;; [unrolled: 1-line block ×4, first 2 shown]
	ds_read2_b32 v[98:99], v109 offset0:126 offset1:189
	ds_read_b32 v108, v109 offset:6048
	v_lshlrev_b32_e32 v50, 4, v91
	ds_read2_b32 v[91:92], v88 offset0:124 offset1:187
	ds_read2_b32 v[100:101], v90 offset0:118 offset1:181
	;; [unrolled: 1-line block ×5, first 2 shown]
	global_load_dwordx4 v[52:55], v49, s[4:5] offset:1248
	v_mov_b32_e32 v48, s17
	v_add_u32_e32 v94, 0xe00, v109
	v_add_u32_e32 v97, 0xa00, v109
	;; [unrolled: 1-line block ×5, first 2 shown]
	v_addc_co_u32_e64 v179, vcc, 0, v48, s[6:7]
	ds_read2_b32 v[169:170], v94 offset0:112 offset1:175
	ds_read2_b32 v[171:172], v97 offset0:116 offset1:179
	;; [unrolled: 1-line block ×5, first 2 shown]
	global_load_dwordx4 v[48:51], v50, s[4:5] offset:1248
	s_waitcnt lgkmcnt(9)
	v_lshrrev_b32_e32 v185, 16, v92
	s_waitcnt lgkmcnt(8)
	v_lshrrev_b32_e32 v190, 16, v101
	;; [unrolled: 2-line block ×3, first 2 shown]
	v_lshrrev_b32_e32 v192, 16, v105
	v_lshrrev_b32_e32 v193, 16, v107
	s_waitcnt lgkmcnt(3)
	v_lshrrev_b32_e32 v194, 16, v171
	v_lshrrev_b32_e32 v195, 16, v170
	s_waitcnt lgkmcnt(2)
	v_lshrrev_b32_e32 v196, 16, v173
	s_waitcnt lgkmcnt(1)
	v_lshrrev_b32_e32 v197, 16, v175
	v_lshrrev_b32_e32 v198, 16, v172
	s_waitcnt lgkmcnt(0)
	v_lshrrev_b32_e32 v199, 16, v177
	v_lshrrev_b32_e32 v200, 16, v174
	;; [unrolled: 1-line block ×8, first 2 shown]
	s_movk_i32 s5, 0x3b9c
	s_mov_b32 s7, 0xbb9c
	v_lshrrev_b32_e32 v184, 16, v108
	s_movk_i32 s4, 0x38b4
	s_mov_b32 s15, 0xb8b4
	s_movk_i32 s6, 0x34f2
	v_lshrrev_b32_e32 v180, 16, v85
	v_lshrrev_b32_e32 v189, 16, v106
	;; [unrolled: 1-line block ×6, first 2 shown]
	s_movk_i32 s14, 0x1000
	s_waitcnt vmcnt(4)
	v_mul_f16_sdwa v205, v185, v36 dst_sel:DWORD dst_unused:UNUSED_PAD src0_sel:DWORD src1_sel:WORD_1
	v_mul_f16_sdwa v206, v92, v36 dst_sel:DWORD dst_unused:UNUSED_PAD src0_sel:DWORD src1_sel:WORD_1
	v_fma_f16 v92, v92, v36, -v205
	s_waitcnt vmcnt(3)
	v_mul_f16_sdwa v205, v190, v41 dst_sel:DWORD dst_unused:UNUSED_PAD src0_sel:DWORD src1_sel:WORD_1
	v_fma_f16 v205, v101, v41, -v205
	v_mul_f16_sdwa v101, v101, v41 dst_sel:DWORD dst_unused:UNUSED_PAD src0_sel:DWORD src1_sel:WORD_1
	v_fma_f16 v101, v190, v41, v101
	v_mul_f16_sdwa v190, v191, v42 dst_sel:DWORD dst_unused:UNUSED_PAD src0_sel:DWORD src1_sel:WORD_1
	v_fma_f16 v190, v169, v42, -v190
	v_mul_f16_sdwa v169, v169, v42 dst_sel:DWORD dst_unused:UNUSED_PAD src0_sel:DWORD src1_sel:WORD_1
	v_fma_f16 v169, v191, v42, v169
	;; [unrolled: 4-line block ×3, first 2 shown]
	s_waitcnt vmcnt(2)
	v_mul_f16_sdwa v192, v193, v44 dst_sel:DWORD dst_unused:UNUSED_PAD src0_sel:DWORD src1_sel:WORD_1
	v_fma_f16 v192, v107, v44, -v192
	v_mul_f16_sdwa v107, v107, v44 dst_sel:DWORD dst_unused:UNUSED_PAD src0_sel:DWORD src1_sel:WORD_1
	v_fma_f16 v107, v193, v44, v107
	v_mul_f16_sdwa v193, v194, v45 dst_sel:DWORD dst_unused:UNUSED_PAD src0_sel:DWORD src1_sel:WORD_1
	v_fma_f16 v193, v171, v45, -v193
	v_mul_f16_sdwa v171, v171, v45 dst_sel:DWORD dst_unused:UNUSED_PAD src0_sel:DWORD src1_sel:WORD_1
	v_fma_f16 v171, v194, v45, v171
	;; [unrolled: 4-line block ×4, first 2 shown]
	s_waitcnt vmcnt(1)
	v_mul_f16_sdwa v196, v197, v52 dst_sel:DWORD dst_unused:UNUSED_PAD src0_sel:DWORD src1_sel:WORD_1
	v_fma_f16 v196, v175, v52, -v196
	v_mul_f16_sdwa v175, v175, v52 dst_sel:DWORD dst_unused:UNUSED_PAD src0_sel:DWORD src1_sel:WORD_1
	v_fma_f16 v175, v197, v52, v175
	v_mul_f16_sdwa v197, v198, v53 dst_sel:DWORD dst_unused:UNUSED_PAD src0_sel:DWORD src1_sel:WORD_1
	v_fma_f16 v197, v172, v53, -v197
	v_mul_f16_sdwa v172, v172, v53 dst_sel:DWORD dst_unused:UNUSED_PAD src0_sel:DWORD src1_sel:WORD_1
	v_fma_f16 v172, v198, v53, v172
	;; [unrolled: 4-line block ×4, first 2 shown]
	s_waitcnt vmcnt(0)
	v_mul_f16_sdwa v200, v202, v48 dst_sel:DWORD dst_unused:UNUSED_PAD src0_sel:DWORD src1_sel:WORD_1
	v_mul_f16_sdwa v207, v186, v37 dst_sel:DWORD dst_unused:UNUSED_PAD src0_sel:DWORD src1_sel:WORD_1
	;; [unrolled: 1-line block ×3, first 2 shown]
	v_fma_f16 v200, v176, v48, -v200
	v_mul_f16_sdwa v176, v176, v48 dst_sel:DWORD dst_unused:UNUSED_PAD src0_sel:DWORD src1_sel:WORD_1
	v_mul_f16_sdwa v208, v100, v37 dst_sel:DWORD dst_unused:UNUSED_PAD src0_sel:DWORD src1_sel:WORD_1
	;; [unrolled: 1-line block ×4, first 2 shown]
	v_fma_f16 v100, v100, v37, -v207
	v_fma_f16 v103, v103, v38, -v209
	v_fma_f16 v176, v202, v48, v176
	v_mul_f16_sdwa v202, v203, v49 dst_sel:DWORD dst_unused:UNUSED_PAD src0_sel:DWORD src1_sel:WORD_1
	v_mul_f16_sdwa v211, v188, v39 dst_sel:DWORD dst_unused:UNUSED_PAD src0_sel:DWORD src1_sel:WORD_1
	v_fma_f16 v185, v185, v36, v206
	v_fma_f16 v188, v188, v39, v212
	v_fma_f16 v202, v102, v49, -v202
	v_mul_f16_sdwa v102, v102, v49 dst_sel:DWORD dst_unused:UNUSED_PAD src0_sel:DWORD src1_sel:WORD_1
	v_add_f16_e32 v206, v100, v103
	v_fma_f16 v186, v186, v37, v208
	v_fma_f16 v187, v187, v38, v210
	v_fma_f16 v104, v104, v39, -v211
	v_fma_f16 v102, v203, v49, v102
	v_mul_f16_sdwa v203, v204, v50 dst_sel:DWORD dst_unused:UNUSED_PAD src0_sel:DWORD src1_sel:WORD_1
	v_fma_f16 v206, v206, -0.5, v85
	v_sub_f16_e32 v207, v185, v188
	v_fma_f16 v203, v178, v50, -v203
	v_mul_f16_sdwa v178, v178, v50 dst_sel:DWORD dst_unused:UNUSED_PAD src0_sel:DWORD src1_sel:WORD_1
	v_fma_f16 v208, v207, s5, v206
	v_sub_f16_e32 v209, v186, v187
	v_sub_f16_e32 v210, v92, v100
	;; [unrolled: 1-line block ×3, first 2 shown]
	v_fma_f16 v206, v207, s7, v206
	v_fma_f16 v178, v204, v50, v178
	v_mul_f16_sdwa v204, v184, v51 dst_sel:DWORD dst_unused:UNUSED_PAD src0_sel:DWORD src1_sel:WORD_1
	v_fma_f16 v208, v209, s4, v208
	v_add_f16_e32 v210, v210, v211
	v_fma_f16 v206, v209, s15, v206
	v_fma_f16 v204, v108, v51, -v204
	v_mul_f16_sdwa v108, v108, v51 dst_sel:DWORD dst_unused:UNUSED_PAD src0_sel:DWORD src1_sel:WORD_1
	v_fma_f16 v208, v210, s6, v208
	v_fma_f16 v206, v210, s6, v206
	v_add_f16_e32 v210, v92, v104
	v_fma_f16 v108, v184, v51, v108
	v_add_f16_e32 v184, v85, v92
	v_fma_f16 v85, v210, -0.5, v85
	v_add_f16_e32 v184, v184, v100
	v_fma_f16 v210, v209, s7, v85
	v_fma_f16 v85, v209, s5, v85
	v_add_f16_e32 v209, v186, v187
	v_add_f16_e32 v184, v184, v103
	v_sub_f16_e32 v211, v100, v92
	v_sub_f16_e32 v212, v103, v104
	v_fma_f16 v209, v209, -0.5, v180
	v_sub_f16_e32 v92, v92, v104
	v_add_f16_e32 v184, v184, v104
	v_fma_f16 v210, v207, s4, v210
	v_add_f16_e32 v211, v211, v212
	v_fma_f16 v85, v207, s15, v85
	v_fma_f16 v104, v92, s7, v209
	v_sub_f16_e32 v100, v100, v103
	v_fma_f16 v210, v211, s6, v210
	v_fma_f16 v85, v211, s6, v85
	;; [unrolled: 1-line block ×3, first 2 shown]
	v_sub_f16_e32 v104, v185, v186
	v_sub_f16_e32 v211, v188, v187
	v_fma_f16 v209, v92, s5, v209
	v_add_f16_e32 v104, v104, v211
	v_fma_f16 v209, v100, s4, v209
	v_fma_f16 v103, v104, s6, v103
	;; [unrolled: 1-line block ×3, first 2 shown]
	v_add_f16_e32 v209, v185, v188
	v_add_f16_e32 v207, v180, v185
	v_fma_f16 v180, v209, -0.5, v180
	v_mul_f16_sdwa v214, v106, v40 dst_sel:DWORD dst_unused:UNUSED_PAD src0_sel:DWORD src1_sel:WORD_1
	v_add_f16_e32 v207, v207, v186
	v_fma_f16 v209, v100, s5, v180
	v_sub_f16_e32 v185, v186, v185
	v_sub_f16_e32 v186, v187, v188
	v_fma_f16 v100, v100, s7, v180
	v_mul_f16_sdwa v213, v189, v40 dst_sel:DWORD dst_unused:UNUSED_PAD src0_sel:DWORD src1_sel:WORD_1
	v_fma_f16 v189, v189, v40, v214
	v_fma_f16 v209, v92, s15, v209
	v_add_f16_e32 v185, v185, v186
	v_fma_f16 v92, v92, s4, v100
	v_add_f16_e32 v180, v205, v190
	v_fma_f16 v106, v106, v40, -v213
	v_add_f16_e32 v207, v207, v187
	v_fma_f16 v186, v185, s6, v209
	v_fma_f16 v92, v185, s6, v92
	v_fma_f16 v180, v180, -0.5, v86
	v_sub_f16_e32 v185, v189, v105
	v_add_f16_e32 v207, v207, v188
	v_fma_f16 v187, v185, s5, v180
	v_sub_f16_e32 v188, v101, v169
	v_sub_f16_e32 v209, v106, v205
	;; [unrolled: 1-line block ×3, first 2 shown]
	v_fma_f16 v180, v185, s7, v180
	v_fma_f16 v187, v188, s4, v187
	v_add_f16_e32 v209, v209, v211
	v_fma_f16 v180, v188, s15, v180
	v_fma_f16 v187, v209, s6, v187
	v_fma_f16 v180, v209, s6, v180
	v_add_f16_e32 v209, v106, v191
	v_add_f16_e32 v100, v86, v106
	v_fma_f16 v86, v209, -0.5, v86
	v_add_f16_e32 v100, v100, v205
	v_fma_f16 v209, v188, s7, v86
	v_sub_f16_e32 v211, v205, v106
	v_sub_f16_e32 v212, v190, v191
	v_fma_f16 v86, v188, s5, v86
	v_add_f16_e32 v188, v101, v169
	v_add_f16_e32 v100, v100, v190
	v_fma_f16 v209, v185, s4, v209
	v_add_f16_e32 v211, v211, v212
	v_fma_f16 v86, v185, s15, v86
	v_fma_f16 v188, v188, -0.5, v181
	v_sub_f16_e32 v106, v106, v191
	v_add_f16_e32 v100, v100, v191
	v_fma_f16 v209, v211, s6, v209
	v_fma_f16 v86, v211, s6, v86
	;; [unrolled: 1-line block ×3, first 2 shown]
	v_sub_f16_e32 v190, v205, v190
	v_sub_f16_e32 v205, v189, v101
	;; [unrolled: 1-line block ×3, first 2 shown]
	v_fma_f16 v188, v106, s5, v188
	v_add_f16_e32 v185, v181, v189
	v_fma_f16 v191, v190, s15, v191
	v_add_f16_e32 v205, v205, v211
	;; [unrolled: 2-line block ×3, first 2 shown]
	v_fma_f16 v191, v205, s6, v191
	v_fma_f16 v188, v205, s6, v188
	v_add_f16_e32 v205, v189, v105
	v_add_f16_e32 v185, v185, v169
	v_fma_f16 v181, v205, -0.5, v181
	v_add_f16_e32 v185, v185, v105
	v_fma_f16 v205, v190, s5, v181
	v_sub_f16_e32 v105, v169, v105
	v_fma_f16 v169, v190, s7, v181
	v_fma_f16 v205, v106, s15, v205
	v_sub_f16_e32 v101, v101, v189
	v_fma_f16 v106, v106, s4, v169
	v_add_f16_e32 v169, v193, v194
	v_add_f16_e32 v101, v101, v105
	v_fma_f16 v169, v169, -0.5, v98
	v_sub_f16_e32 v181, v107, v173
	v_fma_f16 v105, v101, s6, v205
	v_fma_f16 v189, v181, s5, v169
	v_sub_f16_e32 v190, v171, v170
	v_sub_f16_e32 v205, v192, v193
	;; [unrolled: 1-line block ×3, first 2 shown]
	v_fma_f16 v169, v181, s7, v169
	v_fma_f16 v189, v190, s4, v189
	v_add_f16_e32 v205, v205, v211
	v_fma_f16 v169, v190, s15, v169
	v_fma_f16 v189, v205, s6, v189
	;; [unrolled: 1-line block ×3, first 2 shown]
	v_add_f16_e32 v169, v192, v195
	v_fma_f16 v101, v101, s6, v106
	v_add_f16_e32 v106, v98, v192
	v_fma_f16 v98, v169, -0.5, v98
	v_fma_f16 v169, v190, s7, v98
	v_sub_f16_e32 v211, v193, v192
	v_sub_f16_e32 v212, v194, v195
	v_fma_f16 v169, v181, s4, v169
	v_add_f16_e32 v211, v211, v212
	v_fma_f16 v212, v211, s6, v169
	v_add_f16_e32 v169, v182, v107
	v_add_f16_e32 v169, v169, v171
	v_fma_f16 v98, v190, s5, v98
	v_add_f16_e32 v169, v169, v170
	;; [unrolled: 3-line block ×3, first 2 shown]
	v_add_f16_e32 v169, v171, v170
	v_add_f16_e32 v106, v106, v194
	v_fma_f16 v169, v169, -0.5, v182
	v_sub_f16_e32 v190, v192, v195
	v_add_f16_e32 v106, v106, v195
	v_fma_f16 v192, v190, s7, v169
	v_sub_f16_e32 v193, v193, v194
	v_sub_f16_e32 v194, v107, v171
	;; [unrolled: 1-line block ×3, first 2 shown]
	v_fma_f16 v169, v190, s5, v169
	v_fma_f16 v192, v193, s15, v192
	v_add_f16_e32 v194, v194, v195
	v_fma_f16 v169, v193, s4, v169
	v_fma_f16 v192, v194, s6, v192
	;; [unrolled: 1-line block ×3, first 2 shown]
	v_add_f16_e32 v169, v107, v173
	v_fma_f16 v169, v169, -0.5, v182
	v_fma_f16 v182, v193, s5, v169
	v_sub_f16_e32 v107, v171, v107
	v_sub_f16_e32 v170, v170, v173
	v_fma_f16 v169, v193, s7, v169
	v_fma_f16 v182, v190, s15, v182
	v_add_f16_e32 v107, v107, v170
	v_fma_f16 v169, v190, s4, v169
	v_fma_f16 v171, v107, s6, v182
	;; [unrolled: 1-line block ×3, first 2 shown]
	v_add_f16_e32 v169, v99, v196
	v_add_f16_e32 v169, v169, v197
	v_add_f16_e32 v169, v169, v198
	v_add_f16_e32 v173, v169, v199
	v_add_f16_e32 v169, v197, v198
	v_fma_f16 v169, v169, -0.5, v99
	v_sub_f16_e32 v170, v175, v174
	v_fma_f16 v182, v170, s5, v169
	v_sub_f16_e32 v190, v172, v177
	v_sub_f16_e32 v193, v196, v197
	;; [unrolled: 1-line block ×3, first 2 shown]
	v_fma_f16 v169, v170, s7, v169
	v_fma_f16 v182, v190, s4, v182
	v_add_f16_e32 v193, v193, v195
	v_fma_f16 v169, v190, s15, v169
	v_fma_f16 v182, v193, s6, v182
	;; [unrolled: 1-line block ×3, first 2 shown]
	v_add_f16_e32 v169, v196, v199
	v_fma_f16 v99, v169, -0.5, v99
	v_fma_f16 v98, v211, s6, v98
	v_fma_f16 v169, v190, s7, v99
	v_sub_f16_e32 v195, v197, v196
	v_sub_f16_e32 v211, v198, v199
	v_fma_f16 v169, v170, s4, v169
	v_add_f16_e32 v195, v195, v211
	v_fma_f16 v211, v195, s6, v169
	v_add_f16_e32 v169, v183, v175
	v_add_f16_e32 v169, v169, v172
	;; [unrolled: 1-line block ×3, first 2 shown]
	v_fma_f16 v99, v190, s5, v99
	v_add_f16_e32 v190, v169, v174
	v_add_f16_e32 v169, v172, v177
	v_fma_f16 v99, v170, s15, v99
	v_fma_f16 v169, v169, -0.5, v183
	v_sub_f16_e32 v170, v196, v199
	v_fma_f16 v99, v195, s6, v99
	v_fma_f16 v195, v170, s7, v169
	v_sub_f16_e32 v196, v197, v198
	v_sub_f16_e32 v197, v175, v172
	;; [unrolled: 1-line block ×3, first 2 shown]
	v_fma_f16 v169, v170, s5, v169
	v_fma_f16 v195, v196, s15, v195
	v_add_f16_e32 v197, v197, v198
	v_fma_f16 v169, v196, s4, v169
	v_fma_f16 v195, v197, s6, v195
	;; [unrolled: 1-line block ×3, first 2 shown]
	v_add_f16_e32 v169, v175, v174
	v_fma_f16 v169, v169, -0.5, v183
	v_fma_f16 v183, v196, s5, v169
	v_sub_f16_e32 v172, v172, v175
	v_sub_f16_e32 v174, v177, v174
	v_fma_f16 v169, v196, s7, v169
	v_fma_f16 v183, v170, s15, v183
	v_add_f16_e32 v172, v172, v174
	v_fma_f16 v169, v170, s4, v169
	v_fma_f16 v174, v172, s6, v183
	;; [unrolled: 1-line block ×3, first 2 shown]
	v_add_f16_e32 v169, v91, v200
	v_add_f16_e32 v169, v169, v202
	;; [unrolled: 1-line block ×5, first 2 shown]
	v_fma_f16 v169, v169, -0.5, v91
	v_sub_f16_e32 v170, v176, v108
	v_fma_f16 v177, v170, s5, v169
	v_sub_f16_e32 v183, v102, v178
	v_sub_f16_e32 v196, v200, v202
	;; [unrolled: 1-line block ×3, first 2 shown]
	v_fma_f16 v169, v170, s7, v169
	v_fma_f16 v177, v183, s4, v177
	v_add_f16_e32 v196, v196, v198
	v_fma_f16 v169, v183, s15, v169
	v_fma_f16 v177, v196, s6, v177
	;; [unrolled: 1-line block ×3, first 2 shown]
	v_add_f16_e32 v196, v200, v204
	v_fma_f16 v91, v196, -0.5, v91
	v_fma_f16 v196, v183, s7, v91
	v_fma_f16 v91, v183, s5, v91
	v_fma_f16 v196, v170, s4, v196
	v_fma_f16 v91, v170, s15, v91
	v_add_f16_e32 v170, v201, v176
	v_add_f16_e32 v170, v170, v102
	v_sub_f16_e32 v198, v202, v200
	v_sub_f16_e32 v199, v203, v204
	v_add_f16_e32 v170, v170, v178
	v_add_f16_e32 v198, v198, v199
	v_add_f16_e32 v183, v170, v108
	v_add_f16_e32 v170, v102, v178
	v_fma_f16 v196, v198, s6, v196
	v_fma_f16 v91, v198, s6, v91
	v_fma_f16 v170, v170, -0.5, v201
	v_sub_f16_e32 v198, v200, v204
	v_fma_f16 v199, v198, s7, v170
	v_sub_f16_e32 v200, v202, v203
	v_sub_f16_e32 v202, v176, v102
	;; [unrolled: 1-line block ×3, first 2 shown]
	v_fma_f16 v170, v198, s5, v170
	v_fma_f16 v199, v200, s15, v199
	v_add_f16_e32 v202, v202, v203
	v_fma_f16 v170, v200, s4, v170
	v_fma_f16 v199, v202, s6, v199
	;; [unrolled: 1-line block ×3, first 2 shown]
	v_add_f16_e32 v202, v176, v108
	v_fma_f16 v201, v202, -0.5, v201
	v_fma_f16 v202, v200, s5, v201
	v_sub_f16_e32 v102, v102, v176
	v_sub_f16_e32 v108, v178, v108
	v_fma_f16 v176, v200, s7, v201
	v_pack_b32_f16 v85, v85, v92
	v_fma_f16 v202, v198, s15, v202
	v_add_f16_e32 v102, v102, v108
	v_fma_f16 v176, v198, s4, v176
	v_pack_b32_f16 v103, v208, v103
	ds_write_b32 v109, v85 offset:3780
	v_pack_b32_f16 v85, v206, v104
	v_fma_f16 v108, v102, s6, v202
	v_fma_f16 v102, v102, s6, v176
	v_pack_b32_f16 v176, v184, v207
	ds_write_b32 v109, v103 offset:1260
	v_pack_b32_f16 v103, v210, v186
	ds_write_b32 v109, v85 offset:5040
	v_pack_b32_f16 v85, v100, v185
	ds_write_b32 v109, v103 offset:2520
	ds_write2_b32 v109, v176, v85 offset1:63
	v_pack_b32_f16 v85, v187, v191
	v_pack_b32_f16 v103, v189, v192
	;; [unrolled: 1-line block ×3, first 2 shown]
	ds_write2_b32 v89, v85, v103 offset0:122 offset1:185
	v_pack_b32_f16 v85, v212, v171
	v_pack_b32_f16 v86, v86, v101
	ds_write2_b32 v90, v92, v85 offset0:181 offset1:244
	v_pack_b32_f16 v85, v98, v107
	v_pack_b32_f16 v100, v180, v188
	;; [unrolled: 3-line block ×4, first 2 shown]
	ds_write2_b32 v109, v101, v85 offset0:126 offset1:189
	ds_write_b32 v109, v86 offset:3276
	v_pack_b32_f16 v86, v99, v172
	ds_write_b32 v109, v86 offset:4536
	v_pack_b32_f16 v86, v193, v197
	;; [unrolled: 2-line block ×3, first 2 shown]
	v_pack_b32_f16 v85, v182, v195
	ds_write_b32 v109, v86 offset:1008
	v_pack_b32_f16 v86, v177, v199
	ds_write2_b32 v95, v85, v86 offset0:120 offset1:183
	v_pack_b32_f16 v85, v196, v108
	ds_write_b32 v109, v85 offset:3528
	v_pack_b32_f16 v85, v91, v102
	ds_write_b32 v109, v85 offset:4788
	;; [unrolled: 2-line block ×3, first 2 shown]
	v_add_co_u32_e32 v85, vcc, s14, v56
	v_addc_co_u32_e32 v86, vcc, 0, v179, vcc
	s_waitcnt lgkmcnt(0)
	; wave barrier
	s_waitcnt lgkmcnt(0)
	global_load_dword v100, v[85:86], off offset:2204
	s_movk_i32 s4, 0x189c
	v_add_co_u32_e32 v85, vcc, s4, v56
	v_addc_co_u32_e32 v86, vcc, 0, v179, vcc
	global_load_dword v104, v[85:86], off offset:2100
	s_movk_i32 s4, 0x2000
	v_add_co_u32_e32 v91, vcc, s4, v56
	v_addc_co_u32_e32 v92, vcc, 0, v179, vcc
	global_load_dword v105, v[91:92], off offset:2308
	global_load_dword v106, v[85:86], off offset:252
	;; [unrolled: 1-line block ×9, first 2 shown]
	ds_read2_b32 v[98:99], v109 offset1:63
	global_load_dword v175, v[85:86], off offset:3864
	s_waitcnt lgkmcnt(0)
	v_lshrrev_b32_e32 v101, 16, v98
	s_waitcnt vmcnt(11)
	v_mul_f16_sdwa v102, v101, v100 dst_sel:DWORD dst_unused:UNUSED_PAD src0_sel:DWORD src1_sel:WORD_1
	v_fma_f16 v102, v98, v100, -v102
	v_mul_f16_sdwa v98, v98, v100 dst_sel:DWORD dst_unused:UNUSED_PAD src0_sel:DWORD src1_sel:WORD_1
	v_fma_f16 v98, v101, v100, v98
	v_pack_b32_f16 v98, v102, v98
	ds_write_b32 v109, v98
	ds_read2_b32 v[100:101], v90 offset0:13 offset1:76
	global_load_dword v177, v[91:92], off offset:3064
	global_load_dword v178, v[85:86], off offset:3108
	global_load_dword v179, v[85:86], off offset:3360
	global_load_dword v180, v[85:86], off offset:3612
	global_load_dword v181, v[85:86], off offset:1008
	global_load_dword v182, v[85:86], off offset:1260
	global_load_dword v183, v[85:86], off offset:1512
	global_load_dword v184, v[85:86], off offset:1764
	ds_read2_b32 v[102:103], v93 offset0:26 offset1:89
	s_waitcnt lgkmcnt(1)
	v_lshrrev_b32_e32 v98, 16, v100
	s_waitcnt vmcnt(18)
	v_mul_f16_sdwa v185, v98, v104 dst_sel:DWORD dst_unused:UNUSED_PAD src0_sel:DWORD src1_sel:WORD_1
	v_fma_f16 v185, v100, v104, -v185
	v_mul_f16_sdwa v100, v100, v104 dst_sel:DWORD dst_unused:UNUSED_PAD src0_sel:DWORD src1_sel:WORD_1
	v_fma_f16 v98, v98, v104, v100
	v_pack_b32_f16 v104, v185, v98
	global_load_dword v185, v[91:92], off offset:3316
	global_load_dword v186, v[91:92], off offset:3568
	;; [unrolled: 1-line block ×4, first 2 shown]
	s_waitcnt lgkmcnt(0)
	v_lshrrev_b32_e32 v98, 16, v102
	s_waitcnt vmcnt(21)
	v_mul_f16_sdwa v91, v98, v105 dst_sel:DWORD dst_unused:UNUSED_PAD src0_sel:DWORD src1_sel:WORD_1
	v_mul_f16_sdwa v92, v102, v105 dst_sel:DWORD dst_unused:UNUSED_PAD src0_sel:DWORD src1_sel:WORD_1
	v_fma_f16 v91, v102, v105, -v91
	v_fma_f16 v92, v98, v105, v92
	v_pack_b32_f16 v102, v91, v92
	v_lshrrev_b32_e32 v91, 16, v99
	s_waitcnt vmcnt(20)
	v_mul_f16_sdwa v92, v91, v106 dst_sel:DWORD dst_unused:UNUSED_PAD src0_sel:DWORD src1_sel:WORD_1
	v_mul_f16_sdwa v98, v99, v106 dst_sel:DWORD dst_unused:UNUSED_PAD src0_sel:DWORD src1_sel:WORD_1
	v_fma_f16 v92, v99, v106, -v92
	v_fma_f16 v91, v91, v106, v98
	v_pack_b32_f16 v100, v92, v91
	;; [unrolled: 7-line block ×3, first 2 shown]
	ds_read2_b32 v[91:92], v109 offset0:126 offset1:189
	v_lshrrev_b32_e32 v98, 16, v103
	s_waitcnt vmcnt(18)
	v_mul_f16_sdwa v99, v98, v108 dst_sel:DWORD dst_unused:UNUSED_PAD src0_sel:DWORD src1_sel:WORD_1
	v_mul_f16_sdwa v101, v103, v108 dst_sel:DWORD dst_unused:UNUSED_PAD src0_sel:DWORD src1_sel:WORD_1
	v_fma_f16 v99, v103, v108, -v99
	v_fma_f16 v98, v98, v108, v101
	s_waitcnt lgkmcnt(0)
	v_lshrrev_b32_e32 v101, 16, v91
	v_pack_b32_f16 v103, v99, v98
	s_waitcnt vmcnt(17)
	v_mul_f16_sdwa v98, v101, v171 dst_sel:DWORD dst_unused:UNUSED_PAD src0_sel:DWORD src1_sel:WORD_1
	v_fma_f16 v106, v91, v171, -v98
	ds_read2_b32 v[98:99], v90 offset0:139 offset1:202
	v_mul_f16_sdwa v91, v91, v171 dst_sel:DWORD dst_unused:UNUSED_PAD src0_sel:DWORD src1_sel:WORD_1
	v_fma_f16 v91, v101, v171, v91
	v_pack_b32_f16 v91, v106, v91
	ds_write2_b32 v109, v100, v91 offset0:63 offset1:126
	s_waitcnt lgkmcnt(1)
	v_lshrrev_b32_e32 v91, 16, v98
	s_waitcnt vmcnt(16)
	v_mul_f16_sdwa v100, v91, v172 dst_sel:DWORD dst_unused:UNUSED_PAD src0_sel:DWORD src1_sel:WORD_1
	v_fma_f16 v106, v98, v172, -v100
	ds_read2_b32 v[100:101], v93 offset0:152 offset1:215
	v_mul_f16_sdwa v98, v98, v172 dst_sel:DWORD dst_unused:UNUSED_PAD src0_sel:DWORD src1_sel:WORD_1
	v_fma_f16 v91, v91, v172, v98
	v_pack_b32_f16 v91, v106, v91
	ds_write2_b32 v90, v105, v91 offset0:76 offset1:139
	s_waitcnt lgkmcnt(1)
	v_lshrrev_b32_e32 v91, 16, v100
	s_waitcnt vmcnt(15)
	v_mul_f16_sdwa v98, v91, v173 dst_sel:DWORD dst_unused:UNUSED_PAD src0_sel:DWORD src1_sel:WORD_1
	v_fma_f16 v98, v100, v173, -v98
	v_mul_f16_sdwa v100, v100, v173 dst_sel:DWORD dst_unused:UNUSED_PAD src0_sel:DWORD src1_sel:WORD_1
	v_fma_f16 v91, v91, v173, v100
	v_pack_b32_f16 v91, v98, v91
	ds_write2_b32 v93, v103, v91 offset0:89 offset1:152
	v_lshrrev_b32_e32 v91, 16, v92
	s_waitcnt vmcnt(14)
	v_mul_f16_sdwa v98, v91, v174 dst_sel:DWORD dst_unused:UNUSED_PAD src0_sel:DWORD src1_sel:WORD_1
	v_fma_f16 v98, v92, v174, -v98
	v_mul_f16_sdwa v92, v92, v174 dst_sel:DWORD dst_unused:UNUSED_PAD src0_sel:DWORD src1_sel:WORD_1
	v_fma_f16 v91, v91, v174, v92
	v_pack_b32_f16 v100, v98, v91
	v_lshrrev_b32_e32 v91, 16, v99
	s_waitcnt vmcnt(13)
	v_mul_f16_sdwa v92, v91, v176 dst_sel:DWORD dst_unused:UNUSED_PAD src0_sel:DWORD src1_sel:WORD_1
	v_mul_f16_sdwa v98, v99, v176 dst_sel:DWORD dst_unused:UNUSED_PAD src0_sel:DWORD src1_sel:WORD_1
	v_fma_f16 v92, v99, v176, -v92
	v_fma_f16 v91, v91, v176, v98
	v_pack_b32_f16 v103, v92, v91
	ds_read2_b32 v[91:92], v88 offset0:124 offset1:187
	v_lshrrev_b32_e32 v98, 16, v101
	s_waitcnt vmcnt(11)
	v_mul_f16_sdwa v99, v98, v177 dst_sel:DWORD dst_unused:UNUSED_PAD src0_sel:DWORD src1_sel:WORD_1
	v_fma_f16 v99, v101, v177, -v99
	v_mul_f16_sdwa v101, v101, v177 dst_sel:DWORD dst_unused:UNUSED_PAD src0_sel:DWORD src1_sel:WORD_1
	v_fma_f16 v98, v98, v177, v101
	s_waitcnt lgkmcnt(0)
	v_lshrrev_b32_e32 v101, 16, v91
	v_pack_b32_f16 v105, v99, v98
	s_waitcnt vmcnt(7)
	v_mul_f16_sdwa v98, v101, v181 dst_sel:DWORD dst_unused:UNUSED_PAD src0_sel:DWORD src1_sel:WORD_1
	v_fma_f16 v106, v91, v181, -v98
	ds_read2_b32 v[98:99], v87 offset0:9 offset1:72
	v_mul_f16_sdwa v91, v91, v181 dst_sel:DWORD dst_unused:UNUSED_PAD src0_sel:DWORD src1_sel:WORD_1
	v_fma_f16 v91, v101, v181, v91
	v_pack_b32_f16 v91, v106, v91
	ds_write2_b32 v109, v100, v91 offset0:189 offset1:252
	s_waitcnt lgkmcnt(1)
	v_lshrrev_b32_e32 v91, 16, v98
	v_mul_f16_sdwa v100, v91, v178 dst_sel:DWORD dst_unused:UNUSED_PAD src0_sel:DWORD src1_sel:WORD_1
	v_fma_f16 v106, v98, v178, -v100
	ds_read2_b32 v[100:101], v168 offset0:22 offset1:85
	v_mul_f16_sdwa v98, v98, v178 dst_sel:DWORD dst_unused:UNUSED_PAD src0_sel:DWORD src1_sel:WORD_1
	v_fma_f16 v91, v91, v178, v98
	v_pack_b32_f16 v91, v106, v91
	ds_write2_b32 v97, v103, v91 offset0:74 offset1:137
	s_waitcnt lgkmcnt(1)
	v_lshrrev_b32_e32 v91, 16, v100
	s_waitcnt vmcnt(3)
	v_mul_f16_sdwa v97, v91, v185 dst_sel:DWORD dst_unused:UNUSED_PAD src0_sel:DWORD src1_sel:WORD_1
	v_mul_f16_sdwa v98, v100, v185 dst_sel:DWORD dst_unused:UNUSED_PAD src0_sel:DWORD src1_sel:WORD_1
	v_fma_f16 v97, v100, v185, -v97
	v_fma_f16 v91, v91, v185, v98
	v_pack_b32_f16 v91, v97, v91
	ds_write2_b32 v96, v105, v91 offset0:87 offset1:150
	v_lshrrev_b32_e32 v91, 16, v92
	v_mul_f16_sdwa v96, v91, v182 dst_sel:DWORD dst_unused:UNUSED_PAD src0_sel:DWORD src1_sel:WORD_1
	v_fma_f16 v96, v92, v182, -v96
	v_mul_f16_sdwa v92, v92, v182 dst_sel:DWORD dst_unused:UNUSED_PAD src0_sel:DWORD src1_sel:WORD_1
	v_fma_f16 v91, v91, v182, v92
	v_pack_b32_f16 v98, v96, v91
	v_lshrrev_b32_e32 v91, 16, v99
	v_mul_f16_sdwa v92, v91, v179 dst_sel:DWORD dst_unused:UNUSED_PAD src0_sel:DWORD src1_sel:WORD_1
	v_mul_f16_sdwa v96, v99, v179 dst_sel:DWORD dst_unused:UNUSED_PAD src0_sel:DWORD src1_sel:WORD_1
	v_fma_f16 v92, v99, v179, -v92
	v_fma_f16 v91, v91, v179, v96
	v_pack_b32_f16 v100, v92, v91
	ds_read2_b32 v[91:92], v89 offset0:122 offset1:185
	v_lshrrev_b32_e32 v96, 16, v101
	s_waitcnt vmcnt(2)
	v_mul_f16_sdwa v97, v96, v186 dst_sel:DWORD dst_unused:UNUSED_PAD src0_sel:DWORD src1_sel:WORD_1
	v_mul_f16_sdwa v99, v101, v186 dst_sel:DWORD dst_unused:UNUSED_PAD src0_sel:DWORD src1_sel:WORD_1
	v_fma_f16 v97, v101, v186, -v97
	v_fma_f16 v96, v96, v186, v99
	s_waitcnt lgkmcnt(0)
	v_lshrrev_b32_e32 v99, 16, v91
	v_pack_b32_f16 v101, v97, v96
	v_mul_f16_sdwa v96, v99, v183 dst_sel:DWORD dst_unused:UNUSED_PAD src0_sel:DWORD src1_sel:WORD_1
	v_fma_f16 v103, v91, v183, -v96
	ds_read2_b32 v[96:97], v87 offset0:135 offset1:198
	v_mul_f16_sdwa v91, v91, v183 dst_sel:DWORD dst_unused:UNUSED_PAD src0_sel:DWORD src1_sel:WORD_1
	v_fma_f16 v91, v99, v183, v91
	v_pack_b32_f16 v91, v103, v91
	ds_write2_b32 v89, v98, v91 offset0:59 offset1:122
	s_waitcnt lgkmcnt(1)
	v_lshrrev_b32_e32 v91, 16, v96
	v_mul_f16_sdwa v98, v91, v180 dst_sel:DWORD dst_unused:UNUSED_PAD src0_sel:DWORD src1_sel:WORD_1
	v_fma_f16 v103, v96, v180, -v98
	ds_read2_b32 v[98:99], v168 offset0:148 offset1:211
	v_mul_f16_sdwa v96, v96, v180 dst_sel:DWORD dst_unused:UNUSED_PAD src0_sel:DWORD src1_sel:WORD_1
	v_fma_f16 v91, v91, v180, v96
	v_pack_b32_f16 v91, v103, v91
	ds_write2_b32 v87, v100, v91 offset0:72 offset1:135
	s_waitcnt lgkmcnt(1)
	v_lshrrev_b32_e32 v91, 16, v98
	s_waitcnt vmcnt(1)
	v_mul_f16_sdwa v96, v91, v187 dst_sel:DWORD dst_unused:UNUSED_PAD src0_sel:DWORD src1_sel:WORD_1
	v_fma_f16 v96, v98, v187, -v96
	v_mul_f16_sdwa v98, v98, v187 dst_sel:DWORD dst_unused:UNUSED_PAD src0_sel:DWORD src1_sel:WORD_1
	v_fma_f16 v91, v91, v187, v98
	v_pack_b32_f16 v91, v96, v91
	ds_write2_b32 v168, v101, v91 offset0:85 offset1:148
	v_lshrrev_b32_e32 v91, 16, v92
	v_mul_f16_sdwa v96, v91, v184 dst_sel:DWORD dst_unused:UNUSED_PAD src0_sel:DWORD src1_sel:WORD_1
	v_fma_f16 v96, v92, v184, -v96
	v_mul_f16_sdwa v92, v92, v184 dst_sel:DWORD dst_unused:UNUSED_PAD src0_sel:DWORD src1_sel:WORD_1
	v_fma_f16 v91, v91, v184, v92
	v_pack_b32_f16 v91, v96, v91
	ds_write2_b32 v95, v91, v104 offset0:57 offset1:141
	v_lshrrev_b32_e32 v91, 16, v97
	v_mul_f16_sdwa v92, v91, v175 dst_sel:DWORD dst_unused:UNUSED_PAD src0_sel:DWORD src1_sel:WORD_1
	v_mul_f16_sdwa v95, v97, v175 dst_sel:DWORD dst_unused:UNUSED_PAD src0_sel:DWORD src1_sel:WORD_1
	v_fma_f16 v92, v97, v175, -v92
	v_fma_f16 v91, v91, v175, v95
	v_pack_b32_f16 v91, v92, v91
	ds_write2_b32 v94, v91, v102 offset0:70 offset1:154
	v_lshrrev_b32_e32 v91, 16, v99
	s_waitcnt vmcnt(0)
	v_mul_f16_sdwa v92, v91, v188 dst_sel:DWORD dst_unused:UNUSED_PAD src0_sel:DWORD src1_sel:WORD_1
	v_mul_f16_sdwa v94, v99, v188 dst_sel:DWORD dst_unused:UNUSED_PAD src0_sel:DWORD src1_sel:WORD_1
	v_fma_f16 v92, v99, v188, -v92
	v_fma_f16 v91, v91, v188, v94
	v_pack_b32_f16 v91, v92, v91
	ds_write_b32 v109, v91 offset:5964
	s_and_saveexec_b64 s[4:5], s[0:1]
	s_cbranch_execz .LBB0_17
; %bb.16:
	global_load_dword v91, v[85:86], off offset:2016
	v_add_co_u32_e32 v85, vcc, 0x1000, v85
	v_addc_co_u32_e32 v86, vcc, 0, v86, vcc
	global_load_dword v92, v[85:86], off offset:20
	s_nop 0
	global_load_dword v85, v[85:86], off offset:2120
	ds_read_b32 v86, v109 offset:2016
	ds_read_b32 v94, v109 offset:4116
	;; [unrolled: 1-line block ×3, first 2 shown]
	s_waitcnt lgkmcnt(2)
	v_lshrrev_b32_e32 v96, 16, v86
	s_waitcnt lgkmcnt(1)
	v_lshrrev_b32_e32 v97, 16, v94
	;; [unrolled: 2-line block ×3, first 2 shown]
	s_waitcnt vmcnt(2)
	v_mul_f16_sdwa v99, v96, v91 dst_sel:DWORD dst_unused:UNUSED_PAD src0_sel:DWORD src1_sel:WORD_1
	v_mul_f16_sdwa v100, v86, v91 dst_sel:DWORD dst_unused:UNUSED_PAD src0_sel:DWORD src1_sel:WORD_1
	v_fma_f16 v86, v86, v91, -v99
	v_fma_f16 v91, v96, v91, v100
	v_pack_b32_f16 v86, v86, v91
	s_waitcnt vmcnt(1)
	v_mul_f16_sdwa v91, v97, v92 dst_sel:DWORD dst_unused:UNUSED_PAD src0_sel:DWORD src1_sel:WORD_1
	v_mul_f16_sdwa v96, v94, v92 dst_sel:DWORD dst_unused:UNUSED_PAD src0_sel:DWORD src1_sel:WORD_1
	s_waitcnt vmcnt(0)
	v_mul_f16_sdwa v99, v98, v85 dst_sel:DWORD dst_unused:UNUSED_PAD src0_sel:DWORD src1_sel:WORD_1
	v_mul_f16_sdwa v100, v95, v85 dst_sel:DWORD dst_unused:UNUSED_PAD src0_sel:DWORD src1_sel:WORD_1
	ds_write_b32 v109, v86 offset:2016
	v_fma_f16 v86, v94, v92, -v91
	v_fma_f16 v91, v97, v92, v96
	v_fma_f16 v92, v95, v85, -v99
	v_fma_f16 v85, v98, v85, v100
	v_pack_b32_f16 v86, v86, v91
	v_pack_b32_f16 v85, v92, v85
	ds_write_b32 v109, v86 offset:4116
	ds_write_b32 v109, v85 offset:6216
.LBB0_17:
	s_or_b64 exec, exec, s[4:5]
	s_waitcnt lgkmcnt(0)
	; wave barrier
	s_waitcnt lgkmcnt(0)
	ds_read2_b32 v[103:104], v109 offset1:63
	ds_read2_b32 v[105:106], v90 offset0:13 offset1:76
	ds_read2_b32 v[107:108], v93 offset0:26 offset1:89
	;; [unrolled: 1-line block ×11, first 2 shown]
	s_and_saveexec_b64 s[4:5], s[0:1]
	s_cbranch_execz .LBB0_19
; %bb.18:
	ds_read_b32 v169, v109 offset:2016
	ds_read_b32 v164, v109 offset:4116
	;; [unrolled: 1-line block ×3, first 2 shown]
	s_waitcnt lgkmcnt(2)
	v_lshrrev_b32_e32 v170, 16, v169
	s_waitcnt lgkmcnt(1)
	v_lshrrev_b32_e32 v166, 16, v164
	;; [unrolled: 2-line block ×3, first 2 shown]
.LBB0_19:
	s_or_b64 exec, exec, s[4:5]
	v_add_f16_e32 v171, v165, v164
	v_add_f16_e32 v168, v169, v164
	v_fma_f16 v169, v171, -0.5, v169
	v_sub_f16_e32 v172, v166, v167
	s_mov_b32 s4, 0xbaee
	s_movk_i32 s5, 0x3aee
	v_fma_f16 v171, v172, s4, v169
	v_fma_f16 v172, v172, s5, v169
	v_add_f16_e32 v169, v170, v166
	s_waitcnt lgkmcnt(10)
	v_pk_add_f16 v173, v103, v105
	v_add_f16_e32 v169, v167, v169
	v_add_f16_e32 v166, v167, v166
	s_waitcnt lgkmcnt(9)
	v_pk_add_f16 v167, v105, v107
	v_pk_add_f16 v105, v105, v107 neg_lo:[0,1] neg_hi:[0,1]
	v_fma_f16 v166, v166, -0.5, v170
	v_sub_f16_e32 v164, v164, v165
	v_pk_fma_f16 v103, v167, 0.5, v103 op_sel_hi:[1,0,1] neg_lo:[1,0,0] neg_hi:[1,0,0]
	v_pk_mul_f16 v105, v105, s5 op_sel_hi:[1,0]
	v_add_f16_e32 v168, v165, v168
	v_fma_f16 v165, v164, s5, v166
	v_fma_f16 v164, v164, s4, v166
	v_pk_add_f16 v166, v173, v107
	v_pk_add_f16 v107, v103, v105 op_sel:[0,1] op_sel_hi:[1,0] neg_lo:[0,1] neg_hi:[0,1]
	v_pk_add_f16 v103, v103, v105 op_sel:[0,1] op_sel_hi:[1,0]
	s_mov_b32 s4, 0xffff
	v_bfi_b32 v105, s4, v107, v103
	s_waitcnt lgkmcnt(0)
	; wave barrier
	s_waitcnt lgkmcnt(0)
	ds_write2_b32 v135, v166, v105 offset1:1
	v_pk_add_f16 v105, v106, v108
	v_pk_add_f16 v174, v104, v106
	v_pk_fma_f16 v104, v105, 0.5, v104 op_sel_hi:[1,0,1] neg_lo:[1,0,0] neg_hi:[1,0,0]
	v_pk_add_f16 v105, v106, v108 neg_lo:[0,1] neg_hi:[0,1]
	v_pk_mul_f16 v105, v105, s5 op_sel_hi:[1,0]
	v_bfi_b32 v103, s4, v103, v107
	v_pk_add_f16 v106, v104, v105 op_sel:[0,1] op_sel_hi:[1,0] neg_lo:[0,1] neg_hi:[0,1]
	v_pk_add_f16 v104, v104, v105 op_sel:[0,1] op_sel_hi:[1,0]
	ds_write_b32 v135, v103 offset:8
	v_pk_add_f16 v103, v174, v108
	v_bfi_b32 v105, s4, v106, v104
	v_pk_add_f16 v175, v97, v99
	ds_write2_b32 v136, v103, v105 offset1:1
	v_bfi_b32 v103, s4, v104, v106
	v_pk_add_f16 v104, v99, v101
	v_pk_add_f16 v99, v99, v101 neg_lo:[0,1] neg_hi:[0,1]
	v_pk_fma_f16 v97, v104, 0.5, v97 op_sel_hi:[1,0,1] neg_lo:[1,0,0] neg_hi:[1,0,0]
	v_pk_mul_f16 v99, v99, s5 op_sel_hi:[1,0]
	ds_write_b32 v136, v103 offset:8
	v_pk_add_f16 v103, v175, v101
	v_pk_add_f16 v101, v97, v99 op_sel:[0,1] op_sel_hi:[1,0] neg_lo:[0,1] neg_hi:[0,1]
	v_pk_add_f16 v97, v97, v99 op_sel:[0,1] op_sel_hi:[1,0]
	v_bfi_b32 v99, s4, v101, v97
	ds_write2_b32 v137, v103, v99 offset1:1
	v_pk_add_f16 v99, v100, v102
	v_pk_add_f16 v176, v98, v100
	v_pk_fma_f16 v98, v99, 0.5, v98 op_sel_hi:[1,0,1] neg_lo:[1,0,0] neg_hi:[1,0,0]
	v_pk_add_f16 v99, v100, v102 neg_lo:[0,1] neg_hi:[0,1]
	v_pk_mul_f16 v99, v99, s5 op_sel_hi:[1,0]
	v_bfi_b32 v97, s4, v97, v101
	v_pk_add_f16 v100, v98, v99 op_sel:[0,1] op_sel_hi:[1,0] neg_lo:[0,1] neg_hi:[0,1]
	v_pk_add_f16 v98, v98, v99 op_sel:[0,1] op_sel_hi:[1,0]
	ds_write_b32 v137, v97 offset:8
	v_pk_add_f16 v97, v176, v102
	v_bfi_b32 v99, s4, v100, v98
	v_pk_add_f16 v177, v91, v93
	ds_write2_b32 v138, v97, v99 offset1:1
	v_bfi_b32 v97, s4, v98, v100
	v_pk_add_f16 v98, v93, v95
	v_pk_add_f16 v93, v93, v95 neg_lo:[0,1] neg_hi:[0,1]
	v_pk_fma_f16 v91, v98, 0.5, v91 op_sel_hi:[1,0,1] neg_lo:[1,0,0] neg_hi:[1,0,0]
	v_pk_mul_f16 v93, v93, s5 op_sel_hi:[1,0]
	ds_write_b32 v138, v97 offset:8
	v_pk_add_f16 v97, v177, v95
	v_pk_add_f16 v95, v91, v93 op_sel:[0,1] op_sel_hi:[1,0] neg_lo:[0,1] neg_hi:[0,1]
	v_pk_add_f16 v91, v91, v93 op_sel:[0,1] op_sel_hi:[1,0]
	v_bfi_b32 v93, s4, v95, v91
	;; [unrolled: 24-line block ×3, first 2 shown]
	ds_write2_b32 v141, v91, v87 offset1:1
	v_pk_add_f16 v87, v88, v90
	v_pk_add_f16 v180, v86, v88
	v_pk_fma_f16 v86, v87, 0.5, v86 op_sel_hi:[1,0,1] neg_lo:[1,0,0] neg_hi:[1,0,0]
	v_pk_add_f16 v87, v88, v90 neg_lo:[0,1] neg_hi:[0,1]
	v_pk_mul_f16 v87, v87, s5 op_sel_hi:[1,0]
	v_bfi_b32 v85, s4, v85, v89
	v_pk_add_f16 v88, v86, v87 op_sel:[0,1] op_sel_hi:[1,0] neg_lo:[0,1] neg_hi:[0,1]
	v_pk_add_f16 v86, v86, v87 op_sel:[0,1] op_sel_hi:[1,0]
	ds_write_b32 v141, v85 offset:8
	v_pk_add_f16 v85, v180, v90
	v_bfi_b32 v87, s4, v88, v86
	ds_write2_b32 v142, v85, v87 offset1:1
	v_bfi_b32 v85, s4, v86, v88
	ds_write_b32 v142, v85 offset:8
	s_and_saveexec_b64 s[4:5], s[0:1]
	s_cbranch_execz .LBB0_21
; %bb.20:
	s_mov_b32 s6, 0x5040100
	v_lshlrev_b32_e32 v85, 2, v143
	v_perm_b32 v86, v165, v171, s6
	v_perm_b32 v87, v169, v168, s6
	ds_write2_b32 v85, v87, v86 offset1:1
	v_perm_b32 v86, v164, v172, s6
	ds_write_b32 v85, v86 offset:8
.LBB0_21:
	s_or_b64 exec, exec, s[4:5]
	v_add_u32_e32 v85, 0x800, v109
	v_add_u32_e32 v86, 0x1000, v109
	s_waitcnt lgkmcnt(0)
	; wave barrier
	s_waitcnt lgkmcnt(0)
	ds_read2_b32 v[91:92], v109 offset1:63
	ds_read2_b32 v[105:106], v85 offset0:13 offset1:76
	ds_read2_b32 v[107:108], v86 offset0:26 offset1:89
	;; [unrolled: 1-line block ×5, first 2 shown]
	v_add_u32_e32 v85, 0x200, v109
	ds_read2_b32 v[87:88], v85 offset0:124 offset1:187
	v_add_u32_e32 v93, 0xc00, v109
	v_add_u32_e32 v94, 0x1400, v109
	;; [unrolled: 1-line block ×3, first 2 shown]
	ds_read2_b32 v[97:98], v93 offset0:9 offset1:72
	ds_read2_b32 v[99:100], v94 offset0:22 offset1:85
	;; [unrolled: 1-line block ×5, first 2 shown]
	s_and_saveexec_b64 s[4:5], s[0:1]
	s_cbranch_execz .LBB0_23
; %bb.22:
	ds_read_b32 v168, v109 offset:2016
	ds_read_b32 v171, v109 offset:4116
	ds_read_b32 v172, v109 offset:6216
	s_waitcnt lgkmcnt(2)
	v_lshrrev_b32_e32 v169, 16, v168
	s_waitcnt lgkmcnt(1)
	v_lshrrev_b32_e32 v165, 16, v171
	;; [unrolled: 2-line block ×3, first 2 shown]
.LBB0_23:
	s_or_b64 exec, exec, s[4:5]
	s_waitcnt lgkmcnt(10)
	v_lshrrev_b32_e32 v136, 16, v105
	v_mul_f16_sdwa v185, v59, v136 dst_sel:DWORD dst_unused:UNUSED_PAD src0_sel:WORD_1 src1_sel:DWORD
	s_waitcnt lgkmcnt(9)
	v_lshrrev_b32_e32 v137, 16, v107
	v_fma_f16 v185, v59, v105, v185
	v_mul_f16_sdwa v105, v59, v105 dst_sel:DWORD dst_unused:UNUSED_PAD src0_sel:WORD_1 src1_sel:DWORD
	v_fma_f16 v59, v59, v136, -v105
	v_mul_f16_sdwa v105, v60, v137 dst_sel:DWORD dst_unused:UNUSED_PAD src0_sel:WORD_1 src1_sel:DWORD
	v_lshrrev_b32_e32 v139, 16, v106
	v_fma_f16 v105, v60, v107, v105
	v_mul_f16_sdwa v107, v60, v107 dst_sel:DWORD dst_unused:UNUSED_PAD src0_sel:WORD_1 src1_sel:DWORD
	v_fma_f16 v60, v60, v137, -v107
	v_mul_f16_sdwa v107, v63, v139 dst_sel:DWORD dst_unused:UNUSED_PAD src0_sel:WORD_1 src1_sel:DWORD
	v_lshrrev_b32_e32 v140, 16, v108
	v_fma_f16 v107, v63, v106, v107
	v_mul_f16_sdwa v106, v63, v106 dst_sel:DWORD dst_unused:UNUSED_PAD src0_sel:WORD_1 src1_sel:DWORD
	v_fma_f16 v106, v63, v139, -v106
	v_mul_f16_sdwa v63, v64, v140 dst_sel:DWORD dst_unused:UNUSED_PAD src0_sel:WORD_1 src1_sel:DWORD
	s_waitcnt lgkmcnt(7)
	v_lshrrev_b32_e32 v142, 16, v103
	v_fma_f16 v136, v64, v108, v63
	v_mul_f16_sdwa v63, v64, v108 dst_sel:DWORD dst_unused:UNUSED_PAD src0_sel:WORD_1 src1_sel:DWORD
	v_fma_f16 v108, v64, v140, -v63
	v_mul_f16_sdwa v63, v73, v142 dst_sel:DWORD dst_unused:UNUSED_PAD src0_sel:WORD_1 src1_sel:DWORD
	s_waitcnt lgkmcnt(6)
	v_lshrrev_b32_e32 v143, 16, v101
	v_fma_f16 v137, v73, v103, v63
	v_mul_f16_sdwa v63, v73, v103 dst_sel:DWORD dst_unused:UNUSED_PAD src0_sel:WORD_1 src1_sel:DWORD
	v_fma_f16 v73, v73, v142, -v63
	v_mul_f16_sdwa v63, v74, v143 dst_sel:DWORD dst_unused:UNUSED_PAD src0_sel:WORD_1 src1_sel:DWORD
	v_lshrrev_b32_e32 v167, 16, v104
	v_fma_f16 v103, v74, v101, v63
	v_mul_f16_sdwa v63, v74, v101 dst_sel:DWORD dst_unused:UNUSED_PAD src0_sel:WORD_1 src1_sel:DWORD
	v_fma_f16 v74, v74, v143, -v63
	v_mul_f16_sdwa v63, v69, v167 dst_sel:DWORD dst_unused:UNUSED_PAD src0_sel:WORD_1 src1_sel:DWORD
	v_lshrrev_b32_e32 v170, 16, v102
	v_fma_f16 v101, v69, v104, v63
	v_mul_f16_sdwa v63, v69, v104 dst_sel:DWORD dst_unused:UNUSED_PAD src0_sel:WORD_1 src1_sel:DWORD
	v_fma_f16 v69, v69, v167, -v63
	v_mul_f16_sdwa v63, v70, v170 dst_sel:DWORD dst_unused:UNUSED_PAD src0_sel:WORD_1 src1_sel:DWORD
	s_waitcnt lgkmcnt(4)
	v_lshrrev_b32_e32 v174, 16, v97
	v_fma_f16 v104, v70, v102, v63
	v_mul_f16_sdwa v63, v70, v102 dst_sel:DWORD dst_unused:UNUSED_PAD src0_sel:WORD_1 src1_sel:DWORD
	v_fma_f16 v70, v70, v170, -v63
	;; [unrolled: 22-line block ×3, first 2 shown]
	v_mul_f16_sdwa v63, v67, v180 dst_sel:DWORD dst_unused:UNUSED_PAD src0_sel:WORD_1 src1_sel:DWORD
	s_waitcnt lgkmcnt(0)
	v_lshrrev_b32_e32 v181, 16, v93
	v_fma_f16 v100, v67, v95, v63
	v_mul_f16_sdwa v63, v67, v95 dst_sel:DWORD dst_unused:UNUSED_PAD src0_sel:WORD_1 src1_sel:DWORD
	v_fma_f16 v67, v67, v180, -v63
	v_mul_f16_sdwa v63, v68, v181 dst_sel:DWORD dst_unused:UNUSED_PAD src0_sel:WORD_1 src1_sel:DWORD
	v_lshrrev_b32_e32 v183, 16, v96
	v_fma_f16 v95, v68, v93, v63
	v_mul_f16_sdwa v63, v68, v93 dst_sel:DWORD dst_unused:UNUSED_PAD src0_sel:WORD_1 src1_sel:DWORD
	v_fma_f16 v68, v68, v181, -v63
	v_mul_f16_sdwa v63, v65, v183 dst_sel:DWORD dst_unused:UNUSED_PAD src0_sel:WORD_1 src1_sel:DWORD
	;; [unrolled: 5-line block ×3, first 2 shown]
	v_fma_f16 v96, v66, v94, v63
	v_mul_f16_sdwa v63, v66, v94 dst_sel:DWORD dst_unused:UNUSED_PAD src0_sel:WORD_1 src1_sel:DWORD
	v_fma_f16 v66, v66, v184, -v63
	v_mul_f16_sdwa v63, v61, v165 dst_sel:DWORD dst_unused:UNUSED_PAD src0_sel:WORD_1 src1_sel:DWORD
	v_mul_f16_sdwa v64, v61, v171 dst_sel:DWORD dst_unused:UNUSED_PAD src0_sel:WORD_1 src1_sel:DWORD
	v_fma_f16 v63, v61, v171, v63
	v_fma_f16 v64, v61, v165, -v64
	v_mul_f16_sdwa v61, v62, v164 dst_sel:DWORD dst_unused:UNUSED_PAD src0_sel:WORD_1 src1_sel:DWORD
	v_mul_f16_sdwa v94, v62, v172 dst_sel:DWORD dst_unused:UNUSED_PAD src0_sel:WORD_1 src1_sel:DWORD
	v_add_f16_e32 v139, v185, v105
	v_lshrrev_b32_e32 v135, 16, v91
	v_fma_f16 v61, v62, v172, v61
	v_fma_f16 v62, v62, v164, -v94
	v_add_f16_e32 v94, v91, v185
	v_fma_f16 v91, v139, -0.5, v91
	v_sub_f16_e32 v139, v59, v60
	s_mov_b32 s4, 0xbaee
	s_movk_i32 s5, 0x3aee
	v_fma_f16 v140, v139, s4, v91
	v_fma_f16 v91, v139, s5, v91
	v_add_f16_e32 v139, v135, v59
	v_add_f16_e32 v59, v59, v60
	v_add_f16_e32 v139, v139, v60
	v_fma_f16 v59, v59, -0.5, v135
	v_sub_f16_e32 v60, v185, v105
	v_add_f16_e32 v94, v94, v105
	v_fma_f16 v105, v60, s5, v59
	v_fma_f16 v135, v60, s4, v59
	v_add_f16_e32 v59, v92, v107
	v_add_f16_e32 v142, v59, v136
	v_add_f16_e32 v59, v107, v136
	v_lshrrev_b32_e32 v138, 16, v92
	v_fma_f16 v59, v59, -0.5, v92
	v_sub_f16_e32 v60, v106, v108
	v_fma_f16 v92, v60, s4, v59
	v_fma_f16 v143, v60, s5, v59
	v_add_f16_e32 v59, v138, v106
	v_add_f16_e32 v164, v59, v108
	v_add_f16_e32 v59, v106, v108
	v_fma_f16 v59, v59, -0.5, v138
	v_sub_f16_e32 v60, v107, v136
	v_fma_f16 v106, v60, s5, v59
	v_fma_f16 v107, v60, s4, v59
	v_add_f16_e32 v59, v89, v137
	v_add_f16_e32 v108, v59, v103
	v_add_f16_e32 v59, v137, v103
	v_lshrrev_b32_e32 v141, 16, v89
	v_fma_f16 v59, v59, -0.5, v89
	v_sub_f16_e32 v60, v73, v74
	v_fma_f16 v89, v60, s4, v59
	v_fma_f16 v136, v60, s5, v59
	v_add_f16_e32 v59, v141, v73
	v_add_f16_e32 v138, v59, v74
	v_add_f16_e32 v59, v73, v74
	v_fma_f16 v59, v59, -0.5, v141
	v_sub_f16_e32 v60, v137, v103
	;; [unrolled: 15-line block ×5, first 2 shown]
	v_fma_f16 v71, v60, s5, v59
	v_fma_f16 v72, v60, s4, v59
	v_add_f16_e32 v59, v85, v100
	v_add_f16_e32 v98, v59, v95
	;; [unrolled: 1-line block ×3, first 2 shown]
	v_lshrrev_b32_e32 v179, 16, v85
	v_fma_f16 v59, v59, -0.5, v85
	v_sub_f16_e32 v60, v67, v68
	v_pack_b32_f16 v91, v91, v135
	v_fma_f16 v85, v60, s4, v59
	v_fma_f16 v99, v60, s5, v59
	v_add_f16_e32 v59, v179, v67
	s_waitcnt lgkmcnt(0)
	; wave barrier
	v_pack_b32_f16 v94, v94, v139
	v_pack_b32_f16 v105, v140, v105
	ds_write_b32 v144, v91 offset:24
	v_pack_b32_f16 v91, v142, v164
	v_pack_b32_f16 v92, v92, v106
	v_add_f16_e32 v167, v59, v68
	v_add_f16_e32 v59, v67, v68
	ds_write2_b32 v144, v94, v105 offset1:3
	ds_write2_b32 v146, v91, v92 offset1:3
	v_pack_b32_f16 v91, v143, v107
	v_fma_f16 v59, v59, -0.5, v179
	v_sub_f16_e32 v60, v100, v95
	ds_write_b32 v146, v91 offset:24
	v_pack_b32_f16 v91, v108, v138
	v_pack_b32_f16 v73, v89, v73
	v_fma_f16 v67, v60, s5, v59
	v_fma_f16 v68, v60, s4, v59
	v_add_f16_e32 v59, v86, v93
	ds_write2_b32 v147, v91, v73 offset1:3
	v_pack_b32_f16 v73, v136, v74
	v_add_f16_e32 v95, v59, v96
	v_add_f16_e32 v59, v93, v96
	ds_write_b32 v147, v73 offset:24
	v_pack_b32_f16 v73, v103, v141
	v_pack_b32_f16 v69, v90, v69
	v_lshrrev_b32_e32 v182, 16, v86
	v_fma_f16 v59, v59, -0.5, v86
	v_sub_f16_e32 v60, v65, v66
	ds_write2_b32 v148, v73, v69 offset1:3
	v_pack_b32_f16 v69, v137, v70
	v_fma_f16 v86, v60, s4, v59
	v_fma_f16 v100, v60, s5, v59
	v_add_f16_e32 v59, v182, v65
	ds_write_b32 v148, v69 offset:24
	v_pack_b32_f16 v69, v101, v165
	v_pack_b32_f16 v70, v87, v75
	v_add_f16_e32 v170, v59, v66
	v_add_f16_e32 v59, v65, v66
	ds_write2_b32 v149, v69, v70 offset1:3
	v_pack_b32_f16 v69, v104, v76
	v_fma_f16 v59, v59, -0.5, v182
	v_sub_f16_e32 v60, v93, v96
	ds_write_b32 v149, v69 offset:24
	v_pack_b32_f16 v69, v97, v166
	v_pack_b32_f16 v70, v88, v71
	v_fma_f16 v93, v60, s5, v59
	v_fma_f16 v96, v60, s4, v59
	v_add_f16_e32 v59, v61, v63
	ds_write2_b32 v151, v69, v70 offset1:3
	v_pack_b32_f16 v69, v102, v72
	v_fma_f16 v60, v59, -0.5, v168
	v_sub_f16_e32 v65, v64, v62
	ds_write_b32 v151, v69 offset:24
	v_pack_b32_f16 v69, v98, v167
	v_pack_b32_f16 v67, v85, v67
	v_fma_f16 v59, v65, s4, v60
	v_fma_f16 v60, v65, s5, v60
	;; [unrolled: 10-line block ×3, first 2 shown]
	ds_write2_b32 v153, v67, v68 offset1:3
	v_pack_b32_f16 v67, v100, v96
	ds_write_b32 v153, v67 offset:24
	s_and_saveexec_b64 s[4:5], s[0:1]
	s_cbranch_execz .LBB0_25
; %bb.24:
	v_add_f16_e32 v64, v169, v64
	v_add_f16_e32 v63, v168, v63
	;; [unrolled: 1-line block ×4, first 2 shown]
	s_mov_b32 s6, 0x5040100
	v_lshlrev_b32_e32 v63, 2, v150
	v_pack_b32_f16 v61, v61, v62
	v_perm_b32 v62, v66, v59, s6
	ds_write2_b32 v63, v61, v62 offset1:3
	v_perm_b32 v61, v65, v60, s6
	ds_write_b32 v63, v61 offset:24
.LBB0_25:
	s_or_b64 exec, exec, s[4:5]
	v_add_u32_e32 v63, 0x200, v109
	s_waitcnt lgkmcnt(0)
	; wave barrier
	s_waitcnt lgkmcnt(0)
	ds_read2_b32 v[63:64], v63 offset0:124 offset1:187
	v_add_u32_e32 v97, 0x800, v109
	ds_read2_b32 v[67:68], v97 offset0:118 offset1:181
	v_add_u32_e32 v98, 0xc00, v109
	ds_read2_b32 v[69:70], v98 offset0:114 offset1:177
	s_waitcnt lgkmcnt(2)
	v_lshrrev_b32_e32 v96, 16, v64
	v_add_u32_e32 v71, 0x1200, v109
	ds_read2_b32 v[71:72], v71 offset0:108 offset1:171
	v_mul_f16_sdwa v165, v4, v96 dst_sel:DWORD dst_unused:UNUSED_PAD src0_sel:WORD_1 src1_sel:DWORD
	v_add_u32_e32 v99, 0x400, v109
	s_waitcnt lgkmcnt(2)
	v_lshrrev_b32_e32 v100, 16, v67
	v_fma_f16 v165, v4, v64, v165
	v_mul_f16_sdwa v64, v4, v64 dst_sel:DWORD dst_unused:UNUSED_PAD src0_sel:WORD_1 src1_sel:DWORD
	ds_read2_b32 v[73:74], v99 offset0:122 offset1:185
	v_fma_f16 v4, v4, v96, -v64
	v_mul_f16_sdwa v64, v5, v100 dst_sel:DWORD dst_unused:UNUSED_PAD src0_sel:WORD_1 src1_sel:DWORD
	s_waitcnt lgkmcnt(2)
	v_lshrrev_b32_e32 v101, 16, v70
	v_fma_f16 v64, v5, v67, v64
	v_mul_f16_sdwa v67, v5, v67 dst_sel:DWORD dst_unused:UNUSED_PAD src0_sel:WORD_1 src1_sel:DWORD
	v_fma_f16 v5, v5, v100, -v67
	v_mul_f16_sdwa v67, v6, v101 dst_sel:DWORD dst_unused:UNUSED_PAD src0_sel:WORD_1 src1_sel:DWORD
	s_waitcnt lgkmcnt(1)
	v_lshrrev_b32_e32 v102, 16, v71
	v_add_u32_e32 v75, 0xe00, v109
	v_fma_f16 v67, v6, v70, v67
	v_mul_f16_sdwa v70, v6, v70 dst_sel:DWORD dst_unused:UNUSED_PAD src0_sel:WORD_1 src1_sel:DWORD
	ds_read2_b32 v[75:76], v75 offset0:112 offset1:175
	v_fma_f16 v6, v6, v101, -v70
	v_mul_f16_sdwa v70, v7, v102 dst_sel:DWORD dst_unused:UNUSED_PAD src0_sel:WORD_1 src1_sel:DWORD
	s_waitcnt lgkmcnt(1)
	v_lshrrev_b32_e32 v104, 16, v73
	v_fma_f16 v70, v7, v71, v70
	v_mul_f16_sdwa v71, v7, v71 dst_sel:DWORD dst_unused:UNUSED_PAD src0_sel:WORD_1 src1_sel:DWORD
	v_fma_f16 v7, v7, v102, -v71
	v_mul_f16_sdwa v71, v8, v104 dst_sel:DWORD dst_unused:UNUSED_PAD src0_sel:WORD_1 src1_sel:DWORD
	v_lshrrev_b32_e32 v105, 16, v68
	v_fma_f16 v71, v8, v73, v71
	v_mul_f16_sdwa v73, v8, v73 dst_sel:DWORD dst_unused:UNUSED_PAD src0_sel:WORD_1 src1_sel:DWORD
	v_fma_f16 v8, v8, v104, -v73
	v_mul_f16_sdwa v73, v9, v105 dst_sel:DWORD dst_unused:UNUSED_PAD src0_sel:WORD_1 src1_sel:DWORD
	v_add_u32_e32 v106, 0xa00, v109
	s_waitcnt lgkmcnt(0)
	v_lshrrev_b32_e32 v107, 16, v75
	v_fma_f16 v73, v9, v68, v73
	v_mul_f16_sdwa v68, v9, v68 dst_sel:DWORD dst_unused:UNUSED_PAD src0_sel:WORD_1 src1_sel:DWORD
	ds_read2_b32 v[87:88], v106 offset0:116 offset1:179
	v_fma_f16 v9, v9, v105, -v68
	v_mul_f16_sdwa v68, v10, v107 dst_sel:DWORD dst_unused:UNUSED_PAD src0_sel:WORD_1 src1_sel:DWORD
	v_lshrrev_b32_e32 v108, 16, v72
	v_fma_f16 v68, v10, v75, v68
	v_mul_f16_sdwa v75, v10, v75 dst_sel:DWORD dst_unused:UNUSED_PAD src0_sel:WORD_1 src1_sel:DWORD
	v_fma_f16 v10, v10, v107, -v75
	v_mul_f16_sdwa v75, v11, v108 dst_sel:DWORD dst_unused:UNUSED_PAD src0_sel:WORD_1 src1_sel:DWORD
	v_lshrrev_b32_e32 v136, 16, v74
	v_add_u32_e32 v139, 0x1400, v109
	v_fma_f16 v75, v11, v72, v75
	v_mul_f16_sdwa v72, v11, v72 dst_sel:DWORD dst_unused:UNUSED_PAD src0_sel:WORD_1 src1_sel:DWORD
	ds_read2_b32 v[89:90], v139 offset0:106 offset1:169
	v_fma_f16 v11, v11, v108, -v72
	v_mul_f16_sdwa v72, v12, v136 dst_sel:DWORD dst_unused:UNUSED_PAD src0_sel:WORD_1 src1_sel:DWORD
	s_waitcnt lgkmcnt(1)
	v_lshrrev_b32_e32 v137, 16, v87
	v_add_u32_e32 v140, 0x600, v109
	v_fma_f16 v72, v12, v74, v72
	v_mul_f16_sdwa v74, v12, v74 dst_sel:DWORD dst_unused:UNUSED_PAD src0_sel:WORD_1 src1_sel:DWORD
	ds_read2_b32 v[91:92], v140 offset0:120 offset1:183
	v_fma_f16 v12, v12, v136, -v74
	v_mul_f16_sdwa v74, v13, v137 dst_sel:DWORD dst_unused:UNUSED_PAD src0_sel:WORD_1 src1_sel:DWORD
	v_lshrrev_b32_e32 v138, 16, v76
	v_fma_f16 v74, v13, v87, v74
	v_mul_f16_sdwa v87, v13, v87 dst_sel:DWORD dst_unused:UNUSED_PAD src0_sel:WORD_1 src1_sel:DWORD
	v_fma_f16 v13, v13, v137, -v87
	v_mul_f16_sdwa v87, v14, v138 dst_sel:DWORD dst_unused:UNUSED_PAD src0_sel:WORD_1 src1_sel:DWORD
	v_add_u32_e32 v141, 0x1000, v109
	s_waitcnt lgkmcnt(1)
	v_lshrrev_b32_e32 v142, 16, v89
	v_fma_f16 v87, v14, v76, v87
	v_mul_f16_sdwa v76, v14, v76 dst_sel:DWORD dst_unused:UNUSED_PAD src0_sel:WORD_1 src1_sel:DWORD
	ds_read2_b32 v[93:94], v141 offset0:110 offset1:173
	v_fma_f16 v14, v14, v138, -v76
	v_mul_f16_sdwa v76, v15, v142 dst_sel:DWORD dst_unused:UNUSED_PAD src0_sel:WORD_1 src1_sel:DWORD
	s_waitcnt lgkmcnt(1)
	v_lshrrev_b32_e32 v144, 16, v91
	v_fma_f16 v76, v15, v89, v76
	v_mul_f16_sdwa v89, v15, v89 dst_sel:DWORD dst_unused:UNUSED_PAD src0_sel:WORD_1 src1_sel:DWORD
	v_fma_f16 v15, v15, v142, -v89
	v_mul_f16_sdwa v89, v16, v144 dst_sel:DWORD dst_unused:UNUSED_PAD src0_sel:WORD_1 src1_sel:DWORD
	v_lshrrev_b32_e32 v146, 16, v88
	v_fma_f16 v89, v16, v91, v89
	v_mul_f16_sdwa v91, v16, v91 dst_sel:DWORD dst_unused:UNUSED_PAD src0_sel:WORD_1 src1_sel:DWORD
	v_fma_f16 v16, v16, v144, -v91
	v_mul_f16_sdwa v91, v17, v146 dst_sel:DWORD dst_unused:UNUSED_PAD src0_sel:WORD_1 src1_sel:DWORD
	s_waitcnt lgkmcnt(0)
	v_lshrrev_b32_e32 v147, 16, v93
	v_fma_f16 v91, v17, v88, v91
	v_mul_f16_sdwa v88, v17, v88 dst_sel:DWORD dst_unused:UNUSED_PAD src0_sel:WORD_1 src1_sel:DWORD
	v_fma_f16 v17, v17, v146, -v88
	v_mul_f16_sdwa v88, v18, v147 dst_sel:DWORD dst_unused:UNUSED_PAD src0_sel:WORD_1 src1_sel:DWORD
	v_lshrrev_b32_e32 v148, 16, v90
	v_fma_f16 v88, v18, v93, v88
	v_mul_f16_sdwa v93, v18, v93 dst_sel:DWORD dst_unused:UNUSED_PAD src0_sel:WORD_1 src1_sel:DWORD
	v_fma_f16 v18, v18, v147, -v93
	v_mul_f16_sdwa v93, v19, v148 dst_sel:DWORD dst_unused:UNUSED_PAD src0_sel:WORD_1 src1_sel:DWORD
	ds_read2_b32 v[61:62], v109 offset1:63
	v_lshrrev_b32_e32 v151, 16, v92
	v_fma_f16 v93, v19, v90, v93
	v_mul_f16_sdwa v90, v19, v90 dst_sel:DWORD dst_unused:UNUSED_PAD src0_sel:WORD_1 src1_sel:DWORD
	ds_read_b32 v149, v109 offset:6048
	v_fma_f16 v19, v19, v148, -v90
	v_mul_f16_sdwa v90, v20, v151 dst_sel:DWORD dst_unused:UNUSED_PAD src0_sel:WORD_1 src1_sel:DWORD
	v_lshrrev_b32_e32 v152, 16, v69
	v_fma_f16 v90, v20, v92, v90
	v_mul_f16_sdwa v92, v20, v92 dst_sel:DWORD dst_unused:UNUSED_PAD src0_sel:WORD_1 src1_sel:DWORD
	v_fma_f16 v20, v20, v151, -v92
	v_mul_f16_sdwa v92, v21, v152 dst_sel:DWORD dst_unused:UNUSED_PAD src0_sel:WORD_1 src1_sel:DWORD
	v_lshrrev_b32_e32 v153, 16, v94
	v_fma_f16 v92, v21, v69, v92
	v_mul_f16_sdwa v69, v21, v69 dst_sel:DWORD dst_unused:UNUSED_PAD src0_sel:WORD_1 src1_sel:DWORD
	v_add_f16_e32 v100, v64, v67
	v_fma_f16 v21, v21, v152, -v69
	v_mul_f16_sdwa v69, v22, v153 dst_sel:DWORD dst_unused:UNUSED_PAD src0_sel:WORD_1 src1_sel:DWORD
	s_waitcnt lgkmcnt(1)
	v_fma_f16 v100, v100, -0.5, v61
	v_sub_f16_e32 v101, v4, v7
	s_mov_b32 s5, 0xbb9c
	s_movk_i32 s7, 0x3b9c
	s_waitcnt lgkmcnt(0)
	v_lshrrev_b32_e32 v164, 16, v149
	v_fma_f16 v69, v22, v94, v69
	v_mul_f16_sdwa v94, v22, v94 dst_sel:DWORD dst_unused:UNUSED_PAD src0_sel:WORD_1 src1_sel:DWORD
	v_fma_f16 v102, v101, s5, v100
	v_sub_f16_e32 v104, v5, v6
	s_mov_b32 s4, 0xb8b4
	v_sub_f16_e32 v105, v165, v64
	v_sub_f16_e32 v107, v70, v67
	v_fma_f16 v100, v101, s7, v100
	s_movk_i32 s14, 0x38b4
	v_fma_f16 v22, v22, v153, -v94
	v_mul_f16_sdwa v94, v23, v164 dst_sel:DWORD dst_unused:UNUSED_PAD src0_sel:WORD_1 src1_sel:DWORD
	v_mul_f16_sdwa v96, v23, v149 dst_sel:DWORD dst_unused:UNUSED_PAD src0_sel:WORD_1 src1_sel:DWORD
	v_fma_f16 v102, v104, s4, v102
	v_add_f16_e32 v105, v105, v107
	s_movk_i32 s6, 0x34f2
	v_fma_f16 v100, v104, s14, v100
	v_fma_f16 v94, v23, v149, v94
	v_fma_f16 v23, v23, v164, -v96
	v_add_f16_e32 v96, v61, v165
	v_fma_f16 v102, v105, s6, v102
	v_fma_f16 v100, v105, s6, v100
	v_add_f16_e32 v105, v165, v70
	v_lshrrev_b32_e32 v95, 16, v61
	v_add_f16_e32 v96, v96, v64
	v_fma_f16 v61, v105, -0.5, v61
	v_add_f16_e32 v96, v96, v67
	v_fma_f16 v105, v104, s7, v61
	v_sub_f16_e32 v107, v64, v165
	v_sub_f16_e32 v108, v67, v70
	v_fma_f16 v61, v104, s5, v61
	v_add_f16_e32 v104, v5, v6
	v_add_f16_e32 v96, v96, v70
	v_fma_f16 v105, v101, s4, v105
	v_add_f16_e32 v107, v107, v108
	v_fma_f16 v61, v101, s14, v61
	v_fma_f16 v104, v104, -0.5, v95
	v_sub_f16_e32 v70, v165, v70
	v_fma_f16 v105, v107, s6, v105
	v_fma_f16 v61, v107, s6, v61
	;; [unrolled: 1-line block ×3, first 2 shown]
	v_sub_f16_e32 v64, v64, v67
	v_fma_f16 v67, v64, s14, v107
	v_sub_f16_e32 v107, v4, v5
	v_sub_f16_e32 v108, v7, v6
	v_add_f16_e32 v107, v107, v108
	v_fma_f16 v108, v107, s6, v67
	v_fma_f16 v67, v70, s5, v104
	v_fma_f16 v67, v64, s4, v67
	v_add_f16_e32 v101, v95, v4
	v_fma_f16 v104, v107, s6, v67
	v_add_f16_e32 v67, v4, v7
	v_add_f16_e32 v101, v101, v5
	v_fma_f16 v67, v67, -0.5, v95
	v_sub_f16_e32 v4, v5, v4
	v_sub_f16_e32 v5, v6, v7
	v_fma_f16 v95, v64, s5, v67
	v_add_f16_e32 v4, v4, v5
	v_fma_f16 v5, v64, s7, v67
	v_fma_f16 v95, v70, s14, v95
	;; [unrolled: 1-line block ×5, first 2 shown]
	v_add_f16_e32 v4, v62, v71
	v_add_f16_e32 v4, v4, v73
	;; [unrolled: 1-line block ×6, first 2 shown]
	v_fma_f16 v4, v4, -0.5, v62
	v_sub_f16_e32 v5, v8, v11
	v_add_f16_e32 v101, v101, v7
	v_fma_f16 v6, v5, s5, v4
	v_sub_f16_e32 v7, v9, v10
	v_sub_f16_e32 v67, v71, v73
	v_sub_f16_e32 v70, v75, v68
	v_fma_f16 v4, v5, s7, v4
	v_add_f16_e32 v67, v67, v70
	v_fma_f16 v4, v7, s14, v4
	v_fma_f16 v137, v67, s6, v4
	v_add_f16_e32 v4, v71, v75
	v_fma_f16 v6, v7, s4, v6
	v_fma_f16 v4, v4, -0.5, v62
	v_lshrrev_b32_e32 v103, 16, v62
	v_fma_f16 v136, v67, s6, v6
	v_fma_f16 v6, v7, s7, v4
	v_sub_f16_e32 v62, v73, v71
	v_sub_f16_e32 v67, v68, v75
	v_fma_f16 v4, v7, s5, v4
	v_fma_f16 v6, v5, s4, v6
	v_add_f16_e32 v62, v62, v67
	v_fma_f16 v4, v5, s14, v4
	v_fma_f16 v138, v62, s6, v6
	;; [unrolled: 1-line block ×3, first 2 shown]
	v_add_f16_e32 v4, v103, v8
	v_add_f16_e32 v4, v4, v9
	;; [unrolled: 1-line block ×5, first 2 shown]
	v_fma_f16 v4, v4, -0.5, v103
	v_sub_f16_e32 v5, v71, v75
	v_fma_f16 v6, v5, s7, v4
	v_sub_f16_e32 v7, v73, v68
	v_sub_f16_e32 v67, v8, v9
	;; [unrolled: 1-line block ×3, first 2 shown]
	v_fma_f16 v4, v5, s5, v4
	ds_read2_b32 v[85:86], v109 offset0:126 offset1:189
	v_add_f16_e32 v67, v67, v68
	v_fma_f16 v4, v7, s4, v4
	v_fma_f16 v73, v67, s6, v4
	v_add_f16_e32 v4, v8, v11
	v_fma_f16 v6, v7, s14, v6
	v_fma_f16 v4, v4, -0.5, v103
	v_fma_f16 v71, v67, s6, v6
	v_fma_f16 v6, v7, s5, v4
	v_sub_f16_e32 v8, v9, v8
	v_sub_f16_e32 v9, v10, v11
	v_fma_f16 v4, v7, s7, v4
	v_fma_f16 v6, v5, s14, v6
	v_add_f16_e32 v8, v8, v9
	v_fma_f16 v4, v5, s4, v4
	v_fma_f16 v9, v8, s6, v6
	;; [unrolled: 1-line block ×3, first 2 shown]
	s_waitcnt lgkmcnt(0)
	v_add_f16_e32 v4, v85, v72
	v_add_f16_e32 v4, v4, v74
	;; [unrolled: 1-line block ×5, first 2 shown]
	v_fma_f16 v4, v4, -0.5, v85
	v_sub_f16_e32 v5, v12, v15
	v_fma_f16 v6, v5, s5, v4
	v_sub_f16_e32 v7, v13, v14
	v_sub_f16_e32 v11, v72, v74
	;; [unrolled: 1-line block ×3, first 2 shown]
	v_fma_f16 v4, v5, s7, v4
	v_fma_f16 v6, v7, s4, v6
	v_add_f16_e32 v11, v11, v67
	v_fma_f16 v4, v7, s14, v4
	v_fma_f16 v75, v11, s6, v6
	;; [unrolled: 1-line block ×3, first 2 shown]
	v_add_f16_e32 v4, v72, v76
	v_fma_f16 v4, v4, -0.5, v85
	v_fma_f16 v6, v7, s7, v4
	v_sub_f16_e32 v67, v74, v72
	v_sub_f16_e32 v68, v87, v76
	v_fma_f16 v4, v7, s5, v4
	v_lshrrev_b32_e32 v135, 16, v85
	v_add_f16_e32 v67, v67, v68
	v_fma_f16 v4, v5, s14, v4
	v_fma_f16 v103, v67, s6, v4
	v_add_f16_e32 v4, v135, v12
	v_add_f16_e32 v4, v4, v13
	;; [unrolled: 1-line block ×5, first 2 shown]
	v_fma_f16 v6, v5, s4, v6
	v_fma_f16 v4, v4, -0.5, v135
	v_sub_f16_e32 v5, v72, v76
	v_fma_f16 v85, v67, s6, v6
	v_fma_f16 v6, v5, s7, v4
	v_sub_f16_e32 v7, v74, v87
	v_sub_f16_e32 v67, v12, v13
	;; [unrolled: 1-line block ×3, first 2 shown]
	v_fma_f16 v4, v5, s5, v4
	v_add_f16_e32 v67, v67, v68
	v_fma_f16 v4, v7, s4, v4
	v_fma_f16 v74, v67, s6, v4
	v_add_f16_e32 v4, v12, v15
	v_fma_f16 v6, v7, s14, v6
	v_fma_f16 v4, v4, -0.5, v135
	v_fma_f16 v72, v67, s6, v6
	v_fma_f16 v6, v7, s5, v4
	v_sub_f16_e32 v12, v13, v12
	v_sub_f16_e32 v13, v14, v15
	v_fma_f16 v4, v7, s7, v4
	v_fma_f16 v6, v5, s14, v6
	v_add_f16_e32 v12, v12, v13
	v_fma_f16 v4, v5, s4, v4
	v_fma_f16 v13, v12, s6, v6
	;; [unrolled: 1-line block ×3, first 2 shown]
	v_add_f16_e32 v4, v86, v89
	v_add_f16_e32 v4, v4, v91
	;; [unrolled: 1-line block ×5, first 2 shown]
	v_fma_f16 v4, v4, -0.5, v86
	v_sub_f16_e32 v5, v16, v19
	v_fma_f16 v6, v5, s5, v4
	v_sub_f16_e32 v7, v17, v18
	v_sub_f16_e32 v15, v89, v91
	;; [unrolled: 1-line block ×3, first 2 shown]
	v_fma_f16 v4, v5, s7, v4
	v_fma_f16 v6, v7, s4, v6
	v_add_f16_e32 v15, v15, v67
	v_fma_f16 v4, v7, s14, v4
	v_fma_f16 v76, v15, s6, v6
	;; [unrolled: 1-line block ×3, first 2 shown]
	v_add_f16_e32 v4, v89, v93
	v_fma_f16 v4, v4, -0.5, v86
	v_fma_f16 v6, v7, s7, v4
	v_sub_f16_e32 v67, v91, v89
	v_sub_f16_e32 v68, v88, v93
	v_fma_f16 v4, v7, s5, v4
	v_lshrrev_b32_e32 v143, 16, v86
	v_add_f16_e32 v67, v67, v68
	v_fma_f16 v4, v5, s14, v4
	v_fma_f16 v87, v67, s6, v4
	v_add_f16_e32 v4, v143, v16
	v_add_f16_e32 v4, v4, v17
	;; [unrolled: 1-line block ×5, first 2 shown]
	v_fma_f16 v6, v5, s4, v6
	v_fma_f16 v4, v4, -0.5, v143
	v_sub_f16_e32 v5, v89, v93
	v_fma_f16 v86, v67, s6, v6
	v_fma_f16 v6, v5, s7, v4
	v_sub_f16_e32 v7, v91, v88
	v_sub_f16_e32 v67, v16, v17
	;; [unrolled: 1-line block ×3, first 2 shown]
	v_fma_f16 v4, v5, s5, v4
	v_add_f16_e32 v67, v67, v68
	v_fma_f16 v4, v7, s4, v4
	v_fma_f16 v89, v67, s6, v4
	v_add_f16_e32 v4, v16, v19
	v_fma_f16 v6, v7, s14, v6
	v_fma_f16 v4, v4, -0.5, v143
	v_fma_f16 v88, v67, s6, v6
	v_fma_f16 v6, v7, s5, v4
	v_sub_f16_e32 v16, v17, v16
	v_sub_f16_e32 v17, v18, v19
	v_fma_f16 v4, v7, s7, v4
	v_fma_f16 v6, v5, s14, v6
	v_add_f16_e32 v16, v16, v17
	v_fma_f16 v4, v5, s4, v4
	v_fma_f16 v17, v16, s6, v6
	;; [unrolled: 1-line block ×3, first 2 shown]
	v_add_f16_e32 v4, v63, v90
	v_add_f16_e32 v4, v4, v92
	;; [unrolled: 1-line block ×5, first 2 shown]
	v_fma_f16 v5, v4, -0.5, v63
	v_sub_f16_e32 v6, v20, v23
	v_fma_f16 v4, v6, s5, v5
	v_sub_f16_e32 v19, v21, v22
	v_sub_f16_e32 v7, v90, v92
	;; [unrolled: 1-line block ×3, first 2 shown]
	v_fma_f16 v5, v6, s7, v5
	v_fma_f16 v4, v19, s4, v4
	v_add_f16_e32 v7, v7, v67
	v_fma_f16 v5, v19, s14, v5
	v_fma_f16 v4, v7, s6, v4
	v_fma_f16 v7, v7, s6, v5
	v_add_f16_e32 v5, v90, v94
	v_lshrrev_b32_e32 v150, 16, v63
	v_fma_f16 v63, v5, -0.5, v63
	v_fma_f16 v5, v19, s7, v63
	v_sub_f16_e32 v67, v92, v90
	v_sub_f16_e32 v68, v69, v94
	v_fma_f16 v19, v19, s5, v63
	v_add_f16_e32 v63, v21, v22
	v_fma_f16 v5, v6, s4, v5
	v_add_f16_e32 v67, v67, v68
	v_fma_f16 v6, v6, s14, v19
	v_fma_f16 v63, v63, -0.5, v150
	v_sub_f16_e32 v90, v90, v94
	v_fma_f16 v5, v67, s6, v5
	v_fma_f16 v6, v67, s6, v6
	;; [unrolled: 1-line block ×3, first 2 shown]
	v_sub_f16_e32 v69, v92, v69
	v_sub_f16_e32 v68, v20, v21
	;; [unrolled: 1-line block ×3, first 2 shown]
	v_fma_f16 v63, v90, s5, v63
	v_fma_f16 v67, v69, s14, v67
	v_add_f16_e32 v68, v68, v70
	v_fma_f16 v63, v69, s4, v63
	v_add_f16_e32 v19, v150, v20
	v_fma_f16 v67, v68, s6, v67
	v_fma_f16 v68, v68, s6, v63
	v_add_f16_e32 v63, v20, v23
	v_add_f16_e32 v19, v19, v21
	v_fma_f16 v63, v63, -0.5, v150
	v_sub_f16_e32 v20, v21, v20
	v_sub_f16_e32 v21, v22, v23
	v_fma_f16 v70, v69, s5, v63
	v_add_f16_e32 v20, v20, v21
	v_fma_f16 v21, v69, s7, v63
	v_fma_f16 v70, v90, s14, v70
	;; [unrolled: 1-line block ×5, first 2 shown]
	v_pack_b32_f16 v20, v96, v101
	v_pack_b32_f16 v21, v102, v108
	s_waitcnt lgkmcnt(0)
	; wave barrier
	ds_write2_b32 v154, v20, v21 offset1:9
	v_pack_b32_f16 v20, v105, v95
	v_pack_b32_f16 v21, v61, v64
	ds_write2_b32 v154, v20, v21 offset0:18 offset1:27
	v_pack_b32_f16 v20, v100, v104
	v_pack_b32_f16 v9, v138, v9
	;; [unrolled: 1-line block ×3, first 2 shown]
	ds_write_b32 v154, v20 offset:144
	ds_write2_b32 v155, v9, v8 offset0:18 offset1:27
	v_pack_b32_f16 v8, v137, v73
	v_pack_b32_f16 v20, v107, v142
	;; [unrolled: 1-line block ×3, first 2 shown]
	ds_write_b32 v155, v8 offset:144
	v_pack_b32_f16 v8, v10, v144
	v_pack_b32_f16 v9, v75, v72
	ds_write2_b32 v155, v20, v21 offset1:9
	ds_write2_b32 v156, v8, v9 offset1:9
	v_pack_b32_f16 v8, v85, v13
	v_pack_b32_f16 v9, v103, v12
	ds_write2_b32 v156, v8, v9 offset0:18 offset1:27
	v_pack_b32_f16 v8, v11, v74
	ds_write_b32 v156, v8 offset:144
	v_pack_b32_f16 v8, v14, v135
	v_pack_b32_f16 v9, v76, v88
	v_add_f16_e32 v19, v19, v22
	ds_write2_b32 v157, v8, v9 offset1:9
	v_pack_b32_f16 v8, v86, v17
	v_pack_b32_f16 v9, v87, v16
	v_add_f16_e32 v19, v19, v23
	ds_write2_b32 v157, v8, v9 offset0:18 offset1:27
	v_pack_b32_f16 v8, v15, v89
	ds_write_b32 v157, v8 offset:144
	v_pack_b32_f16 v8, v18, v19
	v_pack_b32_f16 v9, v4, v67
	ds_write2_b32 v158, v8, v9 offset1:9
	v_pack_b32_f16 v8, v5, v70
	v_pack_b32_f16 v9, v6, v69
	ds_write2_b32 v158, v8, v9 offset0:18 offset1:27
	v_pack_b32_f16 v8, v7, v68
	ds_write_b32 v158, v8 offset:144
	s_waitcnt lgkmcnt(0)
	; wave barrier
	s_waitcnt lgkmcnt(0)
	ds_read2_b32 v[10:11], v109 offset1:63
	ds_read2_b32 v[8:9], v109 offset0:126 offset1:225
	ds_read2_b32 v[63:64], v140 offset0:66 offset1:129
	;; [unrolled: 1-line block ×9, first 2 shown]
	ds_read_b32 v71, v109 offset:5904
	s_and_saveexec_b64 s[4:5], s[2:3]
	s_cbranch_execz .LBB0_27
; %bb.26:
	v_add_u32_e32 v4, 0x280, v109
	v_add_u32_e32 v6, 0x9c0, v109
	;; [unrolled: 1-line block ×3, first 2 shown]
	ds_read2_b32 v[4:5], v4 offset0:29 offset1:254
	ds_read2_b32 v[6:7], v6 offset0:15 offset1:240
	;; [unrolled: 1-line block ×3, first 2 shown]
	ds_read_b32 v159, v109 offset:6156
	s_waitcnt lgkmcnt(3)
	v_lshrrev_b32_e32 v67, 16, v4
	v_lshrrev_b32_e32 v70, 16, v5
	s_waitcnt lgkmcnt(2)
	v_lshrrev_b32_e32 v69, 16, v6
	v_lshrrev_b32_e32 v68, 16, v7
	;; [unrolled: 3-line block ×3, first 2 shown]
	s_waitcnt lgkmcnt(0)
	v_lshrrev_b32_e32 v160, 16, v159
.LBB0_27:
	s_or_b64 exec, exec, s[4:5]
	s_waitcnt lgkmcnt(9)
	v_lshrrev_b32_e32 v72, 16, v9
	v_mul_f16_sdwa v98, v24, v72 dst_sel:DWORD dst_unused:UNUSED_PAD src0_sel:WORD_1 src1_sel:DWORD
	s_waitcnt lgkmcnt(8)
	v_lshrrev_b32_e32 v73, 16, v63
	v_fma_f16 v98, v24, v9, v98
	v_mul_f16_sdwa v9, v24, v9 dst_sel:DWORD dst_unused:UNUSED_PAD src0_sel:WORD_1 src1_sel:DWORD
	v_fma_f16 v9, v24, v72, -v9
	v_mul_f16_sdwa v24, v25, v73 dst_sel:DWORD dst_unused:UNUSED_PAD src0_sel:WORD_1 src1_sel:DWORD
	s_waitcnt lgkmcnt(7)
	v_lshrrev_b32_e32 v74, 16, v15
	v_fma_f16 v24, v25, v63, v24
	v_mul_f16_sdwa v63, v25, v63 dst_sel:DWORD dst_unused:UNUSED_PAD src0_sel:WORD_1 src1_sel:DWORD
	v_fma_f16 v25, v25, v73, -v63
	v_mul_f16_sdwa v63, v26, v74 dst_sel:DWORD dst_unused:UNUSED_PAD src0_sel:WORD_1 src1_sel:DWORD
	s_waitcnt lgkmcnt(6)
	v_lshrrev_b32_e32 v75, 16, v61
	s_waitcnt lgkmcnt(3)
	v_lshrrev_b32_e32 v86, 16, v20
	v_fma_f16 v63, v26, v15, v63
	v_mul_f16_sdwa v15, v26, v15 dst_sel:DWORD dst_unused:UNUSED_PAD src0_sel:WORD_1 src1_sel:DWORD
	v_fma_f16 v15, v26, v74, -v15
	v_mul_f16_sdwa v26, v27, v75 dst_sel:DWORD dst_unused:UNUSED_PAD src0_sel:WORD_1 src1_sel:DWORD
	v_mul_f16_sdwa v73, v28, v86 dst_sel:DWORD dst_unused:UNUSED_PAD src0_sel:WORD_1 src1_sel:DWORD
	v_lshrrev_b32_e32 v87, 16, v64
	v_lshrrev_b32_e32 v92, 16, v21
	v_fma_f16 v26, v27, v61, v26
	v_mul_f16_sdwa v61, v27, v61 dst_sel:DWORD dst_unused:UNUSED_PAD src0_sel:WORD_1 src1_sel:DWORD
	v_fma_f16 v73, v28, v20, v73
	v_mul_f16_sdwa v20, v28, v20 dst_sel:DWORD dst_unused:UNUSED_PAD src0_sel:WORD_1 src1_sel:DWORD
	v_fma_f16 v27, v27, v75, -v61
	v_fma_f16 v20, v28, v86, -v20
	v_mul_f16_sdwa v28, v29, v87 dst_sel:DWORD dst_unused:UNUSED_PAD src0_sel:WORD_1 src1_sel:DWORD
	v_mul_f16_sdwa v75, v32, v92 dst_sel:DWORD dst_unused:UNUSED_PAD src0_sel:WORD_1 src1_sel:DWORD
	s_waitcnt lgkmcnt(2)
	v_lshrrev_b32_e32 v88, 16, v18
	v_lshrrev_b32_e32 v93, 16, v14
	v_fma_f16 v28, v29, v64, v28
	v_mul_f16_sdwa v64, v29, v64 dst_sel:DWORD dst_unused:UNUSED_PAD src0_sel:WORD_1 src1_sel:DWORD
	v_fma_f16 v75, v32, v21, v75
	v_mul_f16_sdwa v21, v32, v21 dst_sel:DWORD dst_unused:UNUSED_PAD src0_sel:WORD_1 src1_sel:DWORD
	v_fma_f16 v29, v29, v87, -v64
	v_mul_f16_sdwa v64, v30, v88 dst_sel:DWORD dst_unused:UNUSED_PAD src0_sel:WORD_1 src1_sel:DWORD
	v_fma_f16 v21, v32, v92, -v21
	v_mul_f16_sdwa v32, v33, v93 dst_sel:DWORD dst_unused:UNUSED_PAD src0_sel:WORD_1 src1_sel:DWORD
	v_lshrrev_b32_e32 v89, 16, v62
	v_lshrrev_b32_e32 v94, 16, v19
	v_fma_f16 v64, v30, v18, v64
	v_mul_f16_sdwa v18, v30, v18 dst_sel:DWORD dst_unused:UNUSED_PAD src0_sel:WORD_1 src1_sel:DWORD
	v_fma_f16 v32, v33, v14, v32
	v_mul_f16_sdwa v14, v33, v14 dst_sel:DWORD dst_unused:UNUSED_PAD src0_sel:WORD_1 src1_sel:DWORD
	v_lshrrev_b32_e32 v76, 16, v13
	v_lshrrev_b32_e32 v85, 16, v22
	v_fma_f16 v18, v30, v88, -v18
	v_mul_f16_sdwa v30, v31, v89 dst_sel:DWORD dst_unused:UNUSED_PAD src0_sel:WORD_1 src1_sel:DWORD
	v_fma_f16 v14, v33, v93, -v14
	v_mul_f16_sdwa v33, v34, v94 dst_sel:DWORD dst_unused:UNUSED_PAD src0_sel:WORD_1 src1_sel:DWORD
	s_waitcnt lgkmcnt(1)
	v_lshrrev_b32_e32 v90, 16, v16
	v_lshrrev_b32_e32 v95, 16, v12
	v_mul_f16_sdwa v61, v79, v76 dst_sel:DWORD dst_unused:UNUSED_PAD src0_sel:WORD_1 src1_sel:DWORD
	v_mul_f16_sdwa v72, v80, v85 dst_sel:DWORD dst_unused:UNUSED_PAD src0_sel:WORD_1 src1_sel:DWORD
	v_fma_f16 v30, v31, v62, v30
	v_mul_f16_sdwa v62, v31, v62 dst_sel:DWORD dst_unused:UNUSED_PAD src0_sel:WORD_1 src1_sel:DWORD
	v_fma_f16 v33, v34, v19, v33
	;; [unrolled: 2-line block ×4, first 2 shown]
	v_mul_f16_sdwa v22, v80, v22 dst_sel:DWORD dst_unused:UNUSED_PAD src0_sel:WORD_1 src1_sel:DWORD
	v_fma_f16 v31, v31, v89, -v62
	v_mul_f16_sdwa v62, v81, v90 dst_sel:DWORD dst_unused:UNUSED_PAD src0_sel:WORD_1 src1_sel:DWORD
	v_fma_f16 v19, v34, v94, -v19
	v_mul_f16_sdwa v34, v35, v95 dst_sel:DWORD dst_unused:UNUSED_PAD src0_sel:WORD_1 src1_sel:DWORD
	v_lshrrev_b32_e32 v91, 16, v23
	v_lshrrev_b32_e32 v96, 16, v17
	s_waitcnt lgkmcnt(0)
	v_lshrrev_b32_e32 v97, 16, v71
	v_fma_f16 v13, v79, v76, -v13
	v_fma_f16 v22, v80, v85, -v22
	v_fma_f16 v62, v81, v16, v62
	v_mul_f16_sdwa v16, v81, v16 dst_sel:DWORD dst_unused:UNUSED_PAD src0_sel:WORD_1 src1_sel:DWORD
	v_fma_f16 v34, v35, v12, v34
	v_mul_f16_sdwa v12, v35, v12 dst_sel:DWORD dst_unused:UNUSED_PAD src0_sel:WORD_1 src1_sel:DWORD
	v_fma_f16 v16, v81, v90, -v16
	v_mul_f16_sdwa v74, v82, v91 dst_sel:DWORD dst_unused:UNUSED_PAD src0_sel:WORD_1 src1_sel:DWORD
	v_fma_f16 v12, v35, v95, -v12
	v_mul_f16_sdwa v35, v83, v96 dst_sel:DWORD dst_unused:UNUSED_PAD src0_sel:WORD_1 src1_sel:DWORD
	v_mul_f16_sdwa v76, v84, v97 dst_sel:DWORD dst_unused:UNUSED_PAD src0_sel:WORD_1 src1_sel:DWORD
	v_add_f16_e32 v79, v98, v72
	v_add_f16_e32 v80, v9, v22
	v_sub_f16_e32 v9, v9, v22
	v_add_f16_e32 v22, v24, v61
	v_add_f16_e32 v81, v25, v13
	v_fma_f16 v74, v82, v23, v74
	v_mul_f16_sdwa v23, v82, v23 dst_sel:DWORD dst_unused:UNUSED_PAD src0_sel:WORD_1 src1_sel:DWORD
	v_fma_f16 v35, v83, v17, v35
	v_mul_f16_sdwa v17, v83, v17 dst_sel:DWORD dst_unused:UNUSED_PAD src0_sel:WORD_1 src1_sel:DWORD
	;; [unrolled: 2-line block ×3, first 2 shown]
	v_sub_f16_e32 v72, v98, v72
	v_sub_f16_e32 v24, v24, v61
	;; [unrolled: 1-line block ×3, first 2 shown]
	v_add_f16_e32 v25, v63, v26
	v_add_f16_e32 v61, v15, v27
	v_sub_f16_e32 v26, v26, v63
	v_sub_f16_e32 v15, v27, v15
	v_add_f16_e32 v27, v22, v79
	v_add_f16_e32 v63, v81, v80
	v_fma_f16 v23, v82, v91, -v23
	v_fma_f16 v17, v83, v96, -v17
	v_fma_f16 v71, v84, v97, -v71
	v_sub_f16_e32 v82, v22, v79
	v_sub_f16_e32 v83, v81, v80
	;; [unrolled: 1-line block ×6, first 2 shown]
	v_add_f16_e32 v84, v26, v24
	v_add_f16_e32 v85, v15, v13
	v_sub_f16_e32 v86, v26, v24
	v_sub_f16_e32 v87, v15, v13
	;; [unrolled: 1-line block ×4, first 2 shown]
	v_add_f16_e32 v25, v25, v27
	v_add_f16_e32 v27, v61, v63
	v_sub_f16_e32 v26, v72, v26
	v_sub_f16_e32 v15, v9, v15
	v_add_f16_e32 v61, v84, v72
	v_add_f16_e32 v9, v85, v9
	v_add_f16_e32 v63, v10, v25
	v_add_f16_sdwa v10, v10, v27 dst_sel:DWORD dst_unused:UNUSED_PAD src0_sel:WORD_1 src1_sel:DWORD
	v_mul_f16_e32 v72, 0x3a52, v79
	v_mul_f16_e32 v79, 0x3a52, v80
	s_movk_i32 s17, 0x2b26
	v_mul_f16_e32 v80, 0x2b26, v22
	v_mul_f16_e32 v84, 0x2b26, v81
	;; [unrolled: 1-line block ×4, first 2 shown]
	s_mov_b32 s6, 0xbb00
	v_mul_f16_e32 v87, 0xbb00, v24
	v_mul_f16_e32 v88, 0xbb00, v13
	s_mov_b32 s18, 0xbcab
	s_movk_i32 s7, 0x39e0
	s_mov_b32 s14, 0xb9e0
	s_mov_b32 s19, 0xb574
	s_movk_i32 s15, 0x3574
	v_fma_f16 v25, v25, s18, v63
	v_fma_f16 v27, v27, s18, v10
	v_fma_f16 v22, v22, s17, v72
	v_fma_f16 v81, v81, s17, v79
	v_fma_f16 v80, v82, s7, -v80
	v_fma_f16 v84, v83, s7, -v84
	;; [unrolled: 1-line block ×4, first 2 shown]
	v_fma_f16 v82, v26, s19, v85
	v_fma_f16 v83, v15, s19, v86
	v_fma_f16 v13, v13, s6, -v86
	v_fma_f16 v26, v26, s15, -v87
	;; [unrolled: 1-line block ×3, first 2 shown]
	s_mov_b32 s16, 0xb70e
	v_fma_f16 v24, v24, s6, -v85
	v_add_f16_e32 v22, v22, v25
	v_add_f16_e32 v81, v81, v27
	;; [unrolled: 1-line block ×6, first 2 shown]
	v_fma_f16 v72, v61, s16, v82
	v_fma_f16 v79, v9, s16, v83
	;; [unrolled: 1-line block ×6, first 2 shown]
	v_sub_f16_e32 v61, v81, v72
	v_add_f16_e32 v82, v9, v25
	v_sub_f16_e32 v83, v27, v26
	v_sub_f16_e32 v9, v25, v9
	v_add_f16_e32 v25, v26, v27
	v_add_f16_e32 v26, v72, v81
	;; [unrolled: 1-line block ×4, first 2 shown]
	v_sub_f16_e32 v73, v73, v74
	v_sub_f16_e32 v20, v20, v23
	v_add_f16_e32 v23, v28, v62
	v_add_f16_e32 v74, v29, v16
	v_sub_f16_e32 v28, v28, v62
	v_sub_f16_e32 v16, v29, v16
	v_add_f16_e32 v29, v64, v30
	v_add_f16_e32 v62, v18, v31
	;; [unrolled: 4-line block ×3, first 2 shown]
	v_add_f16_e32 v15, v79, v22
	v_sub_f16_e32 v85, v80, v13
	v_add_f16_e32 v86, v24, v84
	v_add_f16_e32 v13, v13, v80
	v_sub_f16_e32 v24, v84, v24
	v_sub_f16_e32 v22, v22, v79
	;; [unrolled: 1-line block ×8, first 2 shown]
	v_add_f16_e32 v81, v30, v28
	v_add_f16_e32 v84, v18, v16
	v_sub_f16_e32 v87, v30, v28
	v_sub_f16_e32 v88, v18, v16
	;; [unrolled: 1-line block ×4, first 2 shown]
	v_add_f16_e32 v29, v29, v31
	v_add_f16_e32 v31, v62, v64
	v_sub_f16_e32 v30, v73, v30
	v_sub_f16_e32 v18, v20, v18
	v_add_f16_e32 v62, v81, v73
	v_add_f16_e32 v20, v84, v20
	v_add_f16_e32 v64, v11, v29
	v_add_f16_sdwa v11, v11, v31 dst_sel:DWORD dst_unused:UNUSED_PAD src0_sel:WORD_1 src1_sel:DWORD
	v_mul_f16_e32 v27, 0x3a52, v27
	v_mul_f16_e32 v72, 0x3a52, v72
	;; [unrolled: 1-line block ×8, first 2 shown]
	v_fma_f16 v29, v29, s18, v64
	v_fma_f16 v31, v31, s18, v11
	;; [unrolled: 1-line block ×4, first 2 shown]
	v_fma_f16 v73, v79, s7, -v73
	v_fma_f16 v81, v80, s7, -v81
	;; [unrolled: 1-line block ×4, first 2 shown]
	v_fma_f16 v79, v30, s19, v84
	v_fma_f16 v80, v18, s19, v87
	v_fma_f16 v16, v16, s6, -v87
	v_fma_f16 v30, v30, s15, -v88
	;; [unrolled: 1-line block ×4, first 2 shown]
	v_add_f16_e32 v23, v23, v29
	v_add_f16_e32 v74, v74, v31
	;; [unrolled: 1-line block ×6, first 2 shown]
	v_fma_f16 v31, v62, s16, v79
	v_fma_f16 v16, v20, s16, v16
	;; [unrolled: 1-line block ×4, first 2 shown]
	v_pack_b32_f16 v10, v63, v10
	v_pack_b32_f16 v15, v15, v61
	v_fma_f16 v72, v20, s16, v80
	v_fma_f16 v28, v62, s16, v28
	v_sub_f16_e32 v62, v74, v31
	v_add_f16_e32 v79, v18, v27
	v_sub_f16_e32 v80, v29, v30
	v_sub_f16_e32 v84, v73, v16
	v_add_f16_e32 v16, v16, v73
	v_sub_f16_e32 v18, v27, v18
	v_add_f16_e32 v27, v30, v29
	v_add_f16_e32 v29, v31, v74
	;; [unrolled: 1-line block ×4, first 2 shown]
	v_sub_f16_e32 v21, v21, v71
	v_add_f16_e32 v71, v32, v35
	v_add_f16_e32 v73, v14, v17
	s_waitcnt lgkmcnt(0)
	; wave barrier
	ds_write2_b32 v161, v10, v15 offset1:45
	v_pack_b32_f16 v10, v82, v83
	v_pack_b32_f16 v15, v85, v86
	v_sub_f16_e32 v32, v32, v35
	v_sub_f16_e32 v14, v14, v17
	v_add_f16_e32 v17, v33, v34
	v_add_f16_e32 v35, v19, v12
	v_sub_f16_e32 v33, v34, v33
	v_sub_f16_e32 v12, v12, v19
	v_add_f16_e32 v19, v71, v30
	v_add_f16_e32 v34, v73, v31
	ds_write2_b32 v161, v10, v15 offset0:90 offset1:135
	v_pack_b32_f16 v10, v13, v24
	v_pack_b32_f16 v9, v9, v25
	v_add_f16_e32 v20, v72, v23
	v_add_f16_e32 v87, v28, v81
	v_sub_f16_e32 v28, v81, v28
	v_sub_f16_e32 v23, v23, v72
	;; [unrolled: 1-line block ×9, first 2 shown]
	v_add_f16_e32 v76, v33, v32
	v_add_f16_e32 v81, v12, v14
	v_sub_f16_e32 v88, v33, v32
	v_sub_f16_e32 v89, v12, v14
	v_add_f16_e32 v17, v17, v19
	v_add_f16_e32 v19, v35, v34
	ds_write2_b32 v161, v10, v9 offset0:180 offset1:225
	v_pack_b32_f16 v9, v22, v26
	v_sub_f16_e32 v33, v72, v33
	v_sub_f16_e32 v12, v21, v12
	;; [unrolled: 1-line block ×4, first 2 shown]
	v_add_f16_e32 v34, v76, v72
	v_add_f16_e32 v21, v81, v21
	;; [unrolled: 1-line block ×3, first 2 shown]
	v_add_f16_sdwa v8, v8, v19 dst_sel:DWORD dst_unused:UNUSED_PAD src0_sel:WORD_1 src1_sel:DWORD
	v_mul_f16_e32 v30, 0x3a52, v30
	v_mul_f16_e32 v31, 0x3a52, v31
	;; [unrolled: 1-line block ×6, first 2 shown]
	ds_write_b32 v161, v9 offset:1080
	v_pack_b32_f16 v9, v64, v11
	v_pack_b32_f16 v10, v20, v62
	v_mul_f16_e32 v89, 0xbb00, v32
	v_mul_f16_e32 v90, 0xbb00, v14
	v_fma_f16 v17, v17, s18, v35
	v_fma_f16 v19, v19, s18, v8
	;; [unrolled: 1-line block ×4, first 2 shown]
	v_fma_f16 v72, v74, s7, -v72
	v_fma_f16 v76, v75, s7, -v76
	;; [unrolled: 1-line block ×4, first 2 shown]
	v_fma_f16 v74, v33, s19, v81
	v_fma_f16 v75, v12, s19, v88
	ds_write2_b32 v162, v9, v10 offset1:45
	v_pack_b32_f16 v9, v79, v80
	v_pack_b32_f16 v10, v84, v87
	v_fma_f16 v32, v32, s6, -v81
	v_fma_f16 v14, v14, s6, -v88
	;; [unrolled: 1-line block ×4, first 2 shown]
	v_add_f16_e32 v71, v71, v17
	v_add_f16_e32 v73, v73, v19
	;; [unrolled: 1-line block ×6, first 2 shown]
	v_fma_f16 v30, v34, s16, v74
	v_fma_f16 v31, v21, s16, v75
	ds_write2_b32 v162, v9, v10 offset0:90 offset1:135
	v_pack_b32_f16 v9, v16, v28
	v_pack_b32_f16 v10, v18, v27
	v_fma_f16 v32, v34, s16, v32
	v_fma_f16 v14, v21, s16, v14
	;; [unrolled: 1-line block ×4, first 2 shown]
	v_add_f16_e32 v21, v31, v71
	v_sub_f16_e32 v34, v73, v30
	ds_write2_b32 v162, v9, v10 offset0:180 offset1:225
	v_pack_b32_f16 v9, v23, v29
	v_add_f16_e32 v74, v12, v17
	v_sub_f16_e32 v75, v19, v33
	v_sub_f16_e32 v81, v72, v14
	v_add_f16_e32 v88, v32, v76
	ds_write_b32 v162, v9 offset:1080
	v_pack_b32_f16 v8, v35, v8
	v_pack_b32_f16 v9, v21, v34
	v_add_f16_e32 v14, v14, v72
	v_sub_f16_e32 v32, v76, v32
	v_sub_f16_e32 v12, v17, v12
	v_add_f16_e32 v17, v33, v19
	ds_write2_b32 v163, v8, v9 offset1:45
	v_pack_b32_f16 v8, v74, v75
	v_pack_b32_f16 v9, v81, v88
	v_sub_f16_e32 v19, v71, v31
	v_add_f16_e32 v30, v30, v73
	ds_write2_b32 v163, v8, v9 offset0:90 offset1:135
	v_pack_b32_f16 v8, v14, v32
	v_pack_b32_f16 v9, v12, v17
	ds_write2_b32 v163, v8, v9 offset0:180 offset1:225
	v_pack_b32_f16 v8, v19, v30
	ds_write_b32 v163, v8 offset:1080
	s_and_saveexec_b64 s[4:5], s[2:3]
	s_cbranch_execz .LBB0_29
; %bb.28:
	v_mul_f16_sdwa v12, v2, v68 dst_sel:DWORD dst_unused:UNUSED_PAD src0_sel:WORD_1 src1_sel:DWORD
	v_mul_f16_sdwa v8, v0, v70 dst_sel:DWORD dst_unused:UNUSED_PAD src0_sel:WORD_1 src1_sel:DWORD
	v_fma_f16 v12, v2, v7, v12
	v_mul_f16_sdwa v15, v1, v69 dst_sel:DWORD dst_unused:UNUSED_PAD src0_sel:WORD_1 src1_sel:DWORD
	v_mul_f16_sdwa v7, v2, v7 dst_sel:DWORD dst_unused:UNUSED_PAD src0_sel:WORD_1 src1_sel:DWORD
	v_fma_f16 v8, v0, v5, v8
	v_mul_f16_sdwa v11, v3, v66 dst_sel:DWORD dst_unused:UNUSED_PAD src0_sel:WORD_1 src1_sel:DWORD
	v_fma_f16 v15, v1, v6, v15
	v_mul_f16_sdwa v20, v78, v159 dst_sel:DWORD dst_unused:UNUSED_PAD src0_sel:WORD_1 src1_sel:DWORD
	v_mul_f16_sdwa v5, v0, v5 dst_sel:DWORD dst_unused:UNUSED_PAD src0_sel:WORD_1 src1_sel:DWORD
	v_fma_f16 v2, v2, v68, -v7
	v_mul_f16_sdwa v7, v3, v59 dst_sel:DWORD dst_unused:UNUSED_PAD src0_sel:WORD_1 src1_sel:DWORD
	v_mul_f16_sdwa v22, v77, v60 dst_sel:DWORD dst_unused:UNUSED_PAD src0_sel:WORD_1 src1_sel:DWORD
	;; [unrolled: 1-line block ×4, first 2 shown]
	v_fma_f16 v11, v3, v59, v11
	v_mul_f16_sdwa v16, v77, v65 dst_sel:DWORD dst_unused:UNUSED_PAD src0_sel:WORD_1 src1_sel:DWORD
	v_fma_f16 v20, v78, v160, -v20
	v_fma_f16 v0, v0, v70, -v5
	;; [unrolled: 1-line block ×5, first 2 shown]
	v_fma_f16 v9, v78, v159, v9
	v_fma_f16 v16, v77, v60, v16
	v_add_f16_e32 v5, v20, v0
	v_add_f16_e32 v7, v2, v3
	;; [unrolled: 1-line block ×3, first 2 shown]
	v_sub_f16_e32 v0, v0, v20
	v_sub_f16_e32 v2, v3, v2
	;; [unrolled: 1-line block ×6, first 2 shown]
	v_add_f16_e32 v25, v6, v5
	v_add_f16_e32 v8, v9, v8
	v_add_f16_e32 v9, v12, v11
	v_add_f16_e32 v12, v16, v15
	v_sub_f16_e32 v3, v0, v2
	v_sub_f16_e32 v20, v2, v1
	v_add_f16_e32 v2, v2, v1
	v_sub_f16_e32 v14, v10, v13
	v_sub_f16_e32 v18, v13, v17
	v_add_f16_e32 v13, v13, v17
	;; [unrolled: 3-line block ×3, first 2 shown]
	v_add_f16_e32 v27, v12, v8
	v_add_f16_e32 v2, v2, v0
	v_sub_f16_e32 v0, v1, v0
	v_add_f16_e32 v13, v13, v10
	v_mul_f16_e32 v21, 0x3a52, v21
	v_mul_f16_e32 v24, 0x2b26, v23
	v_add_f16_e32 v25, v67, v7
	v_sub_f16_e32 v11, v8, v9
	v_sub_f16_e32 v15, v9, v12
	v_add_f16_e32 v9, v9, v27
	v_mul_f16_e32 v20, 0x3846, v20
	v_sub_f16_e32 v10, v17, v10
	v_sub_f16_e32 v5, v6, v5
	v_mul_f16_e32 v1, 0xbb00, v0
	v_mul_f16_e32 v18, 0x3846, v18
	v_fma_f16 v23, v23, s17, v21
	v_fma_f16 v7, v7, s18, v25
	v_mul_f16_e32 v11, 0x3a52, v11
	v_mul_f16_e32 v16, 0x2b26, v15
	v_add_f16_e32 v4, v4, v9
	v_fma_f16 v22, v3, s19, v20
	v_mul_f16_e32 v17, 0xbb00, v10
	v_fma_f16 v6, v5, s14, -v21
	v_sub_f16_e32 v8, v12, v8
	v_fma_f16 v1, v3, s15, -v1
	v_fma_f16 v5, v5, s7, -v24
	;; [unrolled: 1-line block ×3, first 2 shown]
	v_fma_f16 v19, v14, s19, v18
	v_add_f16_e32 v23, v23, v7
	v_fma_f16 v15, v15, s17, v11
	v_fma_f16 v9, v9, s18, v4
	v_fma_f16 v22, v2, s16, v22
	v_fma_f16 v14, v14, s15, -v17
	v_add_f16_e32 v6, v6, v7
	v_fma_f16 v11, v8, s14, -v11
	v_fma_f16 v1, v2, s16, v1
	v_add_f16_e32 v5, v5, v7
	v_fma_f16 v7, v10, s6, -v18
	v_fma_f16 v0, v2, s16, v0
	v_fma_f16 v2, v8, s7, -v16
	v_add_f16_e32 v15, v15, v9
	v_fma_f16 v14, v13, s16, v14
	v_add_f16_e32 v11, v11, v9
	v_fma_f16 v7, v13, s16, v7
	v_add_f16_e32 v2, v2, v9
	v_mov_b32_e32 v9, 2
	v_sub_f16_e32 v3, v11, v1
	v_sub_f16_e32 v10, v5, v7
	v_add_f16_e32 v8, v0, v2
	v_add_f16_e32 v5, v7, v5
	v_sub_f16_e32 v0, v2, v0
	v_sub_f16_e32 v2, v6, v14
	v_add_f16_e32 v1, v1, v11
	v_lshlrev_b32_sdwa v9, v9, v145 dst_sel:DWORD dst_unused:UNUSED_PAD src0_sel:DWORD src1_sel:BYTE_0
	v_fma_f16 v19, v13, s16, v19
	v_add_f16_e32 v17, v14, v6
	v_pack_b32_f16 v1, v1, v2
	v_pack_b32_f16 v0, v0, v5
	v_add_u32_e32 v2, 0x1400, v9
	v_add_f16_e32 v26, v19, v23
	v_sub_f16_e32 v27, v15, v22
	v_sub_f16_e32 v6, v23, v19
	v_add_f16_e32 v7, v22, v15
	ds_write2_b32 v2, v1, v0 offset0:70 offset1:115
	v_pack_b32_f16 v0, v8, v10
	v_pack_b32_f16 v1, v3, v17
	;; [unrolled: 1-line block ×4, first 2 shown]
	v_add_u32_e32 v7, 0x1200, v9
	ds_write2_b32 v2, v0, v1 offset0:160 offset1:205
	v_pack_b32_f16 v0, v27, v26
	ds_write2_b32 v7, v4, v6 offset0:108 offset1:153
	ds_write_b32 v9, v0 offset:6120
.LBB0_29:
	s_or_b64 exec, exec, s[4:5]
	v_add_u32_e32 v6, 0x200, v109
	s_waitcnt lgkmcnt(0)
	; wave barrier
	s_waitcnt lgkmcnt(0)
	ds_read2_b32 v[9:10], v6 offset0:124 offset1:187
	v_add_u32_e32 v8, 0x800, v109
	ds_read2_b32 v[11:12], v8 offset0:118 offset1:181
	v_add_u32_e32 v1, 0xc00, v109
	ds_read2_b32 v[13:14], v1 offset0:114 offset1:177
	s_waitcnt lgkmcnt(2)
	v_lshrrev_b32_e32 v31, 16, v10
	v_add_u32_e32 v0, 0x1200, v109
	v_add_u32_e32 v60, 0xe00, v109
	ds_read2_b32 v[15:16], v0 offset0:108 offset1:171
	ds_read2_b32 v[19:20], v60 offset0:112 offset1:175
	v_add_u32_e32 v0, 0xa00, v109
	v_mul_f16_sdwa v81, v36, v31 dst_sel:DWORD dst_unused:UNUSED_PAD src0_sel:WORD_1 src1_sel:DWORD
	v_add_u32_e32 v3, 0x400, v109
	s_waitcnt lgkmcnt(3)
	v_lshrrev_b32_e32 v32, 16, v11
	ds_read2_b32 v[23:24], v0 offset0:116 offset1:179
	v_add_u32_e32 v0, 0x1400, v109
	v_fma_f16 v81, v36, v10, v81
	v_mul_f16_sdwa v10, v36, v10 dst_sel:DWORD dst_unused:UNUSED_PAD src0_sel:WORD_1 src1_sel:DWORD
	ds_read2_b32 v[17:18], v3 offset0:122 offset1:185
	ds_read2_b32 v[25:26], v0 offset0:106 offset1:169
	v_fma_f16 v10, v36, v31, -v10
	v_mul_f16_sdwa v31, v37, v32 dst_sel:DWORD dst_unused:UNUSED_PAD src0_sel:WORD_1 src1_sel:DWORD
	s_waitcnt lgkmcnt(5)
	v_lshrrev_b32_e32 v33, 16, v14
	v_add_u32_e32 v68, 0x600, v109
	v_fma_f16 v31, v37, v11, v31
	v_mul_f16_sdwa v11, v37, v11 dst_sel:DWORD dst_unused:UNUSED_PAD src0_sel:WORD_1 src1_sel:DWORD
	ds_read2_b32 v[27:28], v68 offset0:120 offset1:183
	v_fma_f16 v11, v37, v32, -v11
	v_mul_f16_sdwa v32, v38, v33 dst_sel:DWORD dst_unused:UNUSED_PAD src0_sel:WORD_1 src1_sel:DWORD
	s_waitcnt lgkmcnt(5)
	v_lshrrev_b32_e32 v34, 16, v15
	s_waitcnt lgkmcnt(4)
	v_lshrrev_b32_e32 v62, 16, v19
	v_add_u32_e32 v7, 0x1000, v109
	v_fma_f16 v32, v38, v14, v32
	v_mul_f16_sdwa v14, v38, v14 dst_sel:DWORD dst_unused:UNUSED_PAD src0_sel:WORD_1 src1_sel:DWORD
	ds_read2_b32 v[29:30], v7 offset0:110 offset1:173
	v_fma_f16 v14, v38, v33, -v14
	v_mul_f16_sdwa v33, v39, v34 dst_sel:DWORD dst_unused:UNUSED_PAD src0_sel:WORD_1 src1_sel:DWORD
	v_mul_f16_sdwa v37, v42, v62 dst_sel:DWORD dst_unused:UNUSED_PAD src0_sel:WORD_1 src1_sel:DWORD
	s_waitcnt lgkmcnt(3)
	v_lshrrev_b32_e32 v59, 16, v17
	s_waitcnt lgkmcnt(2)
	v_lshrrev_b32_e32 v69, 16, v25
	v_fma_f16 v33, v39, v15, v33
	v_mul_f16_sdwa v15, v39, v15 dst_sel:DWORD dst_unused:UNUSED_PAD src0_sel:WORD_1 src1_sel:DWORD
	v_fma_f16 v37, v42, v19, v37
	v_mul_f16_sdwa v19, v42, v19 dst_sel:DWORD dst_unused:UNUSED_PAD src0_sel:WORD_1 src1_sel:DWORD
	v_lshrrev_b32_e32 v61, 16, v12
	v_lshrrev_b32_e32 v65, 16, v18
	v_fma_f16 v15, v39, v34, -v15
	v_mul_f16_sdwa v34, v40, v59 dst_sel:DWORD dst_unused:UNUSED_PAD src0_sel:WORD_1 src1_sel:DWORD
	v_fma_f16 v19, v42, v62, -v19
	v_mul_f16_sdwa v42, v47, v69 dst_sel:DWORD dst_unused:UNUSED_PAD src0_sel:WORD_1 src1_sel:DWORD
	ds_read2_b32 v[4:5], v109 offset1:63
	v_lshrrev_b32_e32 v66, 16, v23
	s_waitcnt lgkmcnt(2)
	v_lshrrev_b32_e32 v77, 16, v28
	v_fma_f16 v34, v40, v17, v34
	v_mul_f16_sdwa v17, v40, v17 dst_sel:DWORD dst_unused:UNUSED_PAD src0_sel:WORD_1 src1_sel:DWORD
	v_mul_f16_sdwa v36, v41, v61 dst_sel:DWORD dst_unused:UNUSED_PAD src0_sel:WORD_1 src1_sel:DWORD
	;; [unrolled: 1-line block ×3, first 2 shown]
	v_fma_f16 v42, v47, v25, v42
	v_mul_f16_sdwa v25, v47, v25 dst_sel:DWORD dst_unused:UNUSED_PAD src0_sel:WORD_1 src1_sel:DWORD
	v_lshrrev_b32_e32 v67, 16, v20
	v_lshrrev_b32_e32 v72, 16, v24
	ds_read_b32 v75, v109 offset:6048
	v_fma_f16 v17, v40, v59, -v17
	v_fma_f16 v36, v41, v12, v36
	v_mul_f16_sdwa v12, v41, v12 dst_sel:DWORD dst_unused:UNUSED_PAD src0_sel:WORD_1 src1_sel:DWORD
	v_fma_f16 v39, v44, v18, v39
	v_mul_f16_sdwa v18, v44, v18 dst_sel:DWORD dst_unused:UNUSED_PAD src0_sel:WORD_1 src1_sel:DWORD
	v_mul_f16_sdwa v40, v45, v66 dst_sel:DWORD dst_unused:UNUSED_PAD src0_sel:WORD_1 src1_sel:DWORD
	v_fma_f16 v25, v47, v69, -v25
	v_mul_f16_sdwa v47, v48, v77 dst_sel:DWORD dst_unused:UNUSED_PAD src0_sel:WORD_1 src1_sel:DWORD
	v_lshrrev_b32_e32 v63, 16, v16
	s_waitcnt lgkmcnt(2)
	v_lshrrev_b32_e32 v73, 16, v29
	v_lshrrev_b32_e32 v78, 16, v13
	v_fma_f16 v12, v41, v61, -v12
	v_fma_f16 v18, v44, v65, -v18
	v_fma_f16 v40, v45, v23, v40
	v_mul_f16_sdwa v23, v45, v23 dst_sel:DWORD dst_unused:UNUSED_PAD src0_sel:WORD_1 src1_sel:DWORD
	v_mul_f16_sdwa v41, v46, v67 dst_sel:DWORD dst_unused:UNUSED_PAD src0_sel:WORD_1 src1_sel:DWORD
	;; [unrolled: 1-line block ×3, first 2 shown]
	v_fma_f16 v47, v48, v28, v47
	v_mul_f16_sdwa v28, v48, v28 dst_sel:DWORD dst_unused:UNUSED_PAD src0_sel:WORD_1 src1_sel:DWORD
	v_lshrrev_b32_e32 v74, 16, v26
	v_mul_f16_sdwa v38, v43, v63 dst_sel:DWORD dst_unused:UNUSED_PAD src0_sel:WORD_1 src1_sel:DWORD
	v_fma_f16 v23, v45, v66, -v23
	v_fma_f16 v41, v46, v20, v41
	v_mul_f16_sdwa v20, v46, v20 dst_sel:DWORD dst_unused:UNUSED_PAD src0_sel:WORD_1 src1_sel:DWORD
	v_fma_f16 v44, v53, v24, v44
	v_mul_f16_sdwa v24, v53, v24 dst_sel:DWORD dst_unused:UNUSED_PAD src0_sel:WORD_1 src1_sel:DWORD
	v_mul_f16_sdwa v45, v54, v73 dst_sel:DWORD dst_unused:UNUSED_PAD src0_sel:WORD_1 src1_sel:DWORD
	v_fma_f16 v28, v48, v77, -v28
	v_mul_f16_sdwa v48, v49, v78 dst_sel:DWORD dst_unused:UNUSED_PAD src0_sel:WORD_1 src1_sel:DWORD
	v_lshrrev_b32_e32 v71, 16, v27
	v_lshrrev_b32_e32 v79, 16, v30
	v_fma_f16 v38, v43, v16, v38
	v_mul_f16_sdwa v16, v43, v16 dst_sel:DWORD dst_unused:UNUSED_PAD src0_sel:WORD_1 src1_sel:DWORD
	v_fma_f16 v20, v46, v67, -v20
	v_fma_f16 v24, v53, v72, -v24
	v_fma_f16 v45, v54, v29, v45
	v_mul_f16_sdwa v29, v54, v29 dst_sel:DWORD dst_unused:UNUSED_PAD src0_sel:WORD_1 src1_sel:DWORD
	v_mul_f16_sdwa v46, v55, v74 dst_sel:DWORD dst_unused:UNUSED_PAD src0_sel:WORD_1 src1_sel:DWORD
	v_fma_f16 v48, v49, v13, v48
	v_mul_f16_sdwa v13, v49, v13 dst_sel:DWORD dst_unused:UNUSED_PAD src0_sel:WORD_1 src1_sel:DWORD
	v_add_f16_e32 v53, v31, v32
	v_fma_f16 v16, v43, v63, -v16
	v_mul_f16_sdwa v43, v52, v71 dst_sel:DWORD dst_unused:UNUSED_PAD src0_sel:WORD_1 src1_sel:DWORD
	v_fma_f16 v29, v54, v73, -v29
	v_fma_f16 v46, v55, v26, v46
	v_mul_f16_sdwa v26, v55, v26 dst_sel:DWORD dst_unused:UNUSED_PAD src0_sel:WORD_1 src1_sel:DWORD
	v_fma_f16 v13, v49, v78, -v13
	v_mul_f16_sdwa v49, v50, v79 dst_sel:DWORD dst_unused:UNUSED_PAD src0_sel:WORD_1 src1_sel:DWORD
	s_waitcnt lgkmcnt(1)
	v_fma_f16 v53, v53, -0.5, v4
	v_sub_f16_e32 v54, v10, v15
	s_mov_b32 s3, 0xbb9c
	s_movk_i32 s5, 0x3b9c
	s_waitcnt lgkmcnt(0)
	v_lshrrev_b32_e32 v80, 16, v75
	v_fma_f16 v43, v52, v27, v43
	v_mul_f16_sdwa v27, v52, v27 dst_sel:DWORD dst_unused:UNUSED_PAD src0_sel:WORD_1 src1_sel:DWORD
	v_fma_f16 v26, v55, v74, -v26
	v_fma_f16 v49, v50, v30, v49
	v_mul_f16_sdwa v30, v50, v30 dst_sel:DWORD dst_unused:UNUSED_PAD src0_sel:WORD_1 src1_sel:DWORD
	v_fma_f16 v55, v54, s3, v53
	v_sub_f16_e32 v59, v11, v14
	s_mov_b32 s2, 0xb8b4
	v_sub_f16_e32 v61, v81, v31
	v_sub_f16_e32 v62, v33, v32
	v_fma_f16 v53, v54, s5, v53
	s_movk_i32 s6, 0x38b4
	v_fma_f16 v27, v52, v71, -v27
	v_fma_f16 v30, v50, v79, -v30
	v_mul_f16_sdwa v50, v51, v80 dst_sel:DWORD dst_unused:UNUSED_PAD src0_sel:WORD_1 src1_sel:DWORD
	v_mul_f16_sdwa v52, v51, v75 dst_sel:DWORD dst_unused:UNUSED_PAD src0_sel:WORD_1 src1_sel:DWORD
	v_fma_f16 v55, v59, s2, v55
	v_add_f16_e32 v61, v61, v62
	s_movk_i32 s4, 0x34f2
	v_fma_f16 v53, v59, s6, v53
	v_fma_f16 v50, v51, v75, v50
	v_fma_f16 v51, v51, v80, -v52
	v_add_f16_e32 v52, v4, v81
	v_fma_f16 v55, v61, s4, v55
	v_fma_f16 v53, v61, s4, v53
	v_add_f16_e32 v61, v81, v33
	v_lshrrev_b32_e32 v2, 16, v4
	v_add_f16_e32 v52, v52, v31
	v_fma_f16 v4, v61, -0.5, v4
	v_add_f16_e32 v52, v52, v32
	v_fma_f16 v61, v59, s5, v4
	v_sub_f16_e32 v62, v31, v81
	v_sub_f16_e32 v63, v32, v33
	v_fma_f16 v4, v59, s3, v4
	v_add_f16_e32 v59, v11, v14
	v_add_f16_e32 v52, v52, v33
	v_fma_f16 v61, v54, s2, v61
	v_add_f16_e32 v62, v62, v63
	v_fma_f16 v4, v54, s6, v4
	v_fma_f16 v59, v59, -0.5, v2
	v_sub_f16_e32 v33, v81, v33
	v_fma_f16 v61, v62, s4, v61
	v_fma_f16 v4, v62, s4, v4
	;; [unrolled: 1-line block ×3, first 2 shown]
	v_sub_f16_e32 v31, v31, v32
	v_fma_f16 v32, v31, s6, v62
	v_sub_f16_e32 v62, v10, v11
	v_sub_f16_e32 v63, v15, v14
	v_fma_f16 v59, v33, s3, v59
	v_add_f16_e32 v62, v62, v63
	v_fma_f16 v59, v31, s2, v59
	v_add_f16_e32 v54, v2, v10
	v_fma_f16 v32, v62, s4, v32
	v_fma_f16 v59, v62, s4, v59
	v_add_f16_e32 v62, v10, v15
	v_add_f16_e32 v54, v54, v11
	v_fma_f16 v2, v62, -0.5, v2
	v_add_f16_e32 v54, v54, v14
	v_fma_f16 v62, v31, s3, v2
	v_sub_f16_e32 v10, v11, v10
	v_sub_f16_e32 v11, v14, v15
	v_add_f16_e32 v14, v36, v37
	v_add_f16_e32 v54, v54, v15
	v_fma_f16 v62, v33, s6, v62
	v_add_f16_e32 v10, v10, v11
	v_fma_f16 v2, v31, s5, v2
	v_fma_f16 v14, v14, -0.5, v5
	v_sub_f16_e32 v15, v17, v16
	v_fma_f16 v11, v10, s4, v62
	v_fma_f16 v2, v33, s2, v2
	;; [unrolled: 1-line block ×3, first 2 shown]
	v_sub_f16_e32 v33, v12, v19
	v_sub_f16_e32 v62, v34, v36
	v_sub_f16_e32 v63, v38, v37
	v_fma_f16 v14, v15, s5, v14
	v_fma_f16 v31, v33, s2, v31
	v_add_f16_e32 v62, v62, v63
	v_fma_f16 v14, v33, s6, v14
	v_fma_f16 v31, v62, s4, v31
	;; [unrolled: 1-line block ×3, first 2 shown]
	v_add_f16_e32 v62, v34, v38
	v_lshrrev_b32_e32 v35, 16, v5
	v_fma_f16 v2, v10, s4, v2
	v_add_f16_e32 v10, v5, v34
	v_fma_f16 v5, v62, -0.5, v5
	v_add_f16_e32 v10, v10, v36
	v_fma_f16 v62, v33, s5, v5
	v_fma_f16 v5, v33, s3, v5
	v_add_f16_e32 v33, v12, v19
	v_add_f16_e32 v10, v10, v37
	v_sub_f16_e32 v63, v36, v34
	v_sub_f16_e32 v65, v37, v38
	v_fma_f16 v33, v33, -0.5, v35
	v_sub_f16_e32 v34, v34, v38
	v_add_f16_e32 v10, v10, v38
	v_fma_f16 v62, v15, s2, v62
	v_add_f16_e32 v63, v63, v65
	v_fma_f16 v5, v15, s6, v5
	v_fma_f16 v38, v34, s5, v33
	v_sub_f16_e32 v36, v36, v37
	ds_read2_b32 v[21:22], v109 offset0:126 offset1:189
	v_fma_f16 v62, v63, s4, v62
	v_fma_f16 v5, v63, s4, v5
	;; [unrolled: 1-line block ×3, first 2 shown]
	v_sub_f16_e32 v38, v17, v12
	v_sub_f16_e32 v63, v16, v19
	v_fma_f16 v33, v34, s3, v33
	v_add_f16_e32 v15, v35, v17
	v_add_f16_e32 v38, v38, v63
	v_fma_f16 v33, v36, s2, v33
	v_add_f16_e32 v15, v15, v12
	v_fma_f16 v37, v38, s4, v37
	v_fma_f16 v33, v38, s4, v33
	v_add_f16_e32 v38, v17, v16
	v_add_f16_e32 v15, v15, v19
	v_fma_f16 v35, v38, -0.5, v35
	v_add_f16_e32 v15, v15, v16
	v_fma_f16 v38, v36, s3, v35
	v_sub_f16_e32 v12, v12, v17
	v_sub_f16_e32 v16, v19, v16
	v_fma_f16 v17, v36, s5, v35
	v_add_f16_e32 v19, v40, v41
	v_fma_f16 v38, v34, s6, v38
	v_add_f16_e32 v12, v12, v16
	v_fma_f16 v17, v34, s2, v17
	s_waitcnt lgkmcnt(0)
	v_fma_f16 v19, v19, -0.5, v21
	v_sub_f16_e32 v34, v18, v25
	v_fma_f16 v16, v12, s4, v38
	v_fma_f16 v35, v34, s3, v19
	v_sub_f16_e32 v36, v23, v20
	v_sub_f16_e32 v38, v39, v40
	;; [unrolled: 1-line block ×3, first 2 shown]
	v_fma_f16 v19, v34, s5, v19
	v_fma_f16 v35, v36, s2, v35
	v_add_f16_e32 v38, v38, v63
	v_fma_f16 v19, v36, s6, v19
	v_fma_f16 v35, v38, s4, v35
	;; [unrolled: 1-line block ×3, first 2 shown]
	v_add_f16_e32 v38, v39, v42
	v_lshrrev_b32_e32 v64, 16, v21
	v_fma_f16 v12, v12, s4, v17
	v_add_f16_e32 v17, v21, v39
	v_fma_f16 v21, v38, -0.5, v21
	v_add_f16_e32 v17, v17, v40
	v_fma_f16 v38, v36, s5, v21
	v_fma_f16 v21, v36, s3, v21
	v_add_f16_e32 v36, v23, v20
	v_add_f16_e32 v17, v17, v41
	v_sub_f16_e32 v63, v40, v39
	v_sub_f16_e32 v65, v41, v42
	v_fma_f16 v36, v36, -0.5, v64
	v_sub_f16_e32 v39, v39, v42
	v_add_f16_e32 v17, v17, v42
	v_fma_f16 v38, v34, s2, v38
	v_add_f16_e32 v63, v63, v65
	v_fma_f16 v21, v34, s6, v21
	v_fma_f16 v42, v39, s5, v36
	v_sub_f16_e32 v40, v40, v41
	v_fma_f16 v38, v63, s4, v38
	v_fma_f16 v21, v63, s4, v21
	v_fma_f16 v41, v40, s6, v42
	v_sub_f16_e32 v42, v18, v23
	v_sub_f16_e32 v63, v25, v20
	v_fma_f16 v36, v39, s3, v36
	v_add_f16_e32 v34, v64, v18
	v_add_f16_e32 v42, v42, v63
	v_fma_f16 v36, v40, s2, v36
	v_add_f16_e32 v34, v34, v23
	v_fma_f16 v41, v42, s4, v41
	v_fma_f16 v36, v42, s4, v36
	v_add_f16_e32 v42, v18, v25
	v_add_f16_e32 v34, v34, v20
	v_fma_f16 v42, v42, -0.5, v64
	v_add_f16_e32 v34, v34, v25
	v_fma_f16 v63, v40, s3, v42
	v_sub_f16_e32 v18, v23, v18
	v_sub_f16_e32 v20, v20, v25
	v_fma_f16 v23, v40, s5, v42
	v_add_f16_e32 v25, v44, v45
	v_fma_f16 v63, v39, s6, v63
	v_add_f16_e32 v18, v18, v20
	v_fma_f16 v23, v39, s2, v23
	v_fma_f16 v25, v25, -0.5, v22
	v_sub_f16_e32 v39, v27, v26
	v_fma_f16 v20, v18, s4, v63
	v_fma_f16 v40, v39, s3, v25
	v_sub_f16_e32 v42, v24, v29
	v_sub_f16_e32 v63, v43, v44
	;; [unrolled: 1-line block ×3, first 2 shown]
	v_fma_f16 v25, v39, s5, v25
	v_fma_f16 v40, v42, s2, v40
	v_add_f16_e32 v63, v63, v64
	v_fma_f16 v25, v42, s6, v25
	v_fma_f16 v40, v63, s4, v40
	;; [unrolled: 1-line block ×3, first 2 shown]
	v_add_f16_e32 v63, v43, v46
	v_lshrrev_b32_e32 v70, 16, v22
	v_fma_f16 v18, v18, s4, v23
	v_add_f16_e32 v23, v22, v43
	v_fma_f16 v22, v63, -0.5, v22
	v_add_f16_e32 v23, v23, v44
	v_fma_f16 v63, v42, s5, v22
	v_fma_f16 v22, v42, s3, v22
	v_add_f16_e32 v42, v24, v29
	v_add_f16_e32 v23, v23, v45
	v_sub_f16_e32 v64, v44, v43
	v_sub_f16_e32 v65, v45, v46
	v_fma_f16 v42, v42, -0.5, v70
	v_sub_f16_e32 v43, v43, v46
	v_add_f16_e32 v23, v23, v46
	v_fma_f16 v63, v39, s2, v63
	v_add_f16_e32 v64, v64, v65
	v_fma_f16 v22, v39, s6, v22
	v_fma_f16 v46, v43, s5, v42
	v_sub_f16_e32 v44, v44, v45
	v_fma_f16 v63, v64, s4, v63
	v_fma_f16 v22, v64, s4, v22
	;; [unrolled: 1-line block ×3, first 2 shown]
	v_sub_f16_e32 v46, v27, v24
	v_sub_f16_e32 v64, v26, v29
	v_fma_f16 v42, v43, s3, v42
	v_add_f16_e32 v39, v70, v27
	v_add_f16_e32 v46, v46, v64
	v_fma_f16 v42, v44, s2, v42
	v_add_f16_e32 v39, v39, v24
	v_fma_f16 v45, v46, s4, v45
	v_fma_f16 v42, v46, s4, v42
	v_add_f16_e32 v46, v27, v26
	v_add_f16_e32 v39, v39, v29
	v_fma_f16 v46, v46, -0.5, v70
	v_add_f16_e32 v39, v39, v26
	v_fma_f16 v64, v44, s3, v46
	v_sub_f16_e32 v24, v24, v27
	v_sub_f16_e32 v26, v29, v26
	v_fma_f16 v27, v44, s5, v46
	v_add_f16_e32 v29, v48, v49
	v_fma_f16 v64, v43, s6, v64
	v_add_f16_e32 v24, v24, v26
	v_fma_f16 v27, v43, s2, v27
	v_fma_f16 v29, v29, -0.5, v9
	v_sub_f16_e32 v43, v28, v51
	v_fma_f16 v26, v24, s4, v64
	v_fma_f16 v44, v43, s3, v29
	v_sub_f16_e32 v46, v13, v30
	v_sub_f16_e32 v64, v47, v48
	;; [unrolled: 1-line block ×3, first 2 shown]
	v_fma_f16 v29, v43, s5, v29
	v_fma_f16 v44, v46, s2, v44
	v_add_f16_e32 v64, v64, v65
	v_fma_f16 v29, v46, s6, v29
	v_fma_f16 v44, v64, s4, v44
	;; [unrolled: 1-line block ×3, first 2 shown]
	v_add_f16_e32 v64, v47, v50
	v_lshrrev_b32_e32 v76, 16, v9
	v_fma_f16 v24, v24, s4, v27
	v_add_f16_e32 v27, v9, v47
	v_fma_f16 v9, v64, -0.5, v9
	v_add_f16_e32 v27, v27, v48
	v_fma_f16 v64, v46, s5, v9
	v_fma_f16 v9, v46, s3, v9
	v_add_f16_e32 v46, v13, v30
	v_add_f16_e32 v27, v27, v49
	v_sub_f16_e32 v65, v48, v47
	v_sub_f16_e32 v66, v49, v50
	v_fma_f16 v46, v46, -0.5, v76
	v_sub_f16_e32 v47, v47, v50
	v_add_f16_e32 v27, v27, v50
	v_fma_f16 v64, v43, s2, v64
	v_add_f16_e32 v65, v65, v66
	v_fma_f16 v9, v43, s6, v9
	v_fma_f16 v50, v47, s5, v46
	v_sub_f16_e32 v48, v48, v49
	v_fma_f16 v64, v65, s4, v64
	v_fma_f16 v9, v65, s4, v9
	;; [unrolled: 1-line block ×3, first 2 shown]
	v_sub_f16_e32 v50, v28, v13
	v_sub_f16_e32 v65, v51, v30
	v_fma_f16 v46, v47, s3, v46
	v_add_f16_e32 v50, v50, v65
	v_fma_f16 v46, v48, s2, v46
	v_add_f16_e32 v43, v76, v28
	v_fma_f16 v49, v50, s4, v49
	v_fma_f16 v46, v50, s4, v46
	v_add_f16_e32 v50, v28, v51
	v_add_f16_e32 v43, v43, v13
	v_fma_f16 v50, v50, -0.5, v76
	v_add_f16_e32 v43, v43, v30
	v_fma_f16 v65, v48, s3, v50
	v_sub_f16_e32 v13, v13, v28
	v_sub_f16_e32 v28, v30, v51
	v_fma_f16 v30, v48, s5, v50
	v_pack_b32_f16 v2, v4, v2
	v_fma_f16 v65, v47, s6, v65
	v_add_f16_e32 v13, v13, v28
	v_fma_f16 v30, v47, s2, v30
	ds_write_b32 v109, v2 offset:3780
	v_pack_b32_f16 v2, v53, v59
	v_fma_f16 v28, v13, s4, v65
	v_fma_f16 v13, v13, s4, v30
	v_pack_b32_f16 v30, v52, v54
	v_pack_b32_f16 v32, v55, v32
	;; [unrolled: 1-line block ×3, first 2 shown]
	ds_write_b32 v109, v2 offset:5040
	v_pack_b32_f16 v2, v10, v15
	ds_write_b32 v109, v32 offset:1260
	ds_write_b32 v109, v11 offset:2520
	ds_write2_b32 v109, v30, v2 offset1:63
	v_pack_b32_f16 v2, v31, v37
	v_pack_b32_f16 v5, v5, v12
	;; [unrolled: 1-line block ×4, first 2 shown]
	ds_write2_b32 v3, v2, v12 offset0:122 offset1:185
	v_pack_b32_f16 v2, v38, v20
	ds_write2_b32 v8, v4, v2 offset0:181 offset1:244
	v_pack_b32_f16 v2, v21, v18
	v_pack_b32_f16 v10, v14, v33
	ds_write2_b32 v60, v5, v2 offset0:112 offset1:175
	v_pack_b32_f16 v2, v19, v36
	;; [unrolled: 3-line block ×3, first 2 shown]
	v_pack_b32_f16 v4, v63, v26
	ds_write2_b32 v109, v11, v2 offset0:126 offset1:189
	ds_write_b32 v109, v4 offset:3276
	v_pack_b32_f16 v4, v22, v24
	v_add_f16_e32 v43, v43, v51
	ds_write_b32 v109, v4 offset:4536
	v_pack_b32_f16 v4, v25, v42
	ds_write_b32 v109, v4 offset:5796
	v_pack_b32_f16 v4, v27, v43
	v_pack_b32_f16 v2, v40, v45
	ds_write_b32 v109, v4 offset:1008
	v_pack_b32_f16 v4, v44, v49
	ds_write2_b32 v68, v2, v4 offset0:120 offset1:183
	v_pack_b32_f16 v2, v64, v28
	ds_write_b32 v109, v2 offset:3528
	v_pack_b32_f16 v2, v9, v13
	ds_write_b32 v109, v2 offset:4788
	;; [unrolled: 2-line block ×3, first 2 shown]
	s_waitcnt lgkmcnt(0)
	; wave barrier
	s_waitcnt lgkmcnt(0)
	ds_read2_b32 v[4:5], v109 offset1:63
	s_mov_b32 s6, 0xae67b348
	s_mov_b32 s7, 0x3f44ce19
	v_mad_u64_u32 v[9:10], s[2:3], s10, v58, 0
	s_waitcnt lgkmcnt(0)
	v_lshrrev_b32_e32 v15, 16, v4
	v_mul_f16_sdwa v2, v134, v15 dst_sel:DWORD dst_unused:UNUSED_PAD src0_sel:WORD_1 src1_sel:DWORD
	v_fma_f16 v2, v134, v4, v2
	v_cvt_f32_f16_e32 v2, v2
	s_movk_i32 s17, 0x1ff
	s_movk_i32 s14, 0xffe
	v_mul_f16_sdwa v4, v134, v4 dst_sel:DWORD dst_unused:UNUSED_PAD src0_sel:WORD_1 src1_sel:DWORD
	v_cvt_f64_f32_e32 v[11:12], v2
	v_mov_b32_e32 v2, v10
	v_mad_u64_u32 v[13:14], s[2:3], s11, v58, v[2:3]
	v_mul_f64 v[11:12], v[11:12], s[6:7]
	v_fma_f16 v4, v134, v15, -v4
	v_mov_b32_e32 v10, v13
	v_cvt_f32_f16_e32 v4, v4
	s_movk_i32 s15, 0x40f
	s_mov_b32 s16, 0x8000
	v_lshlrev_b64 v[9:10], 2, v[9:10]
	s_movk_i32 s18, 0x1000
	v_and_or_b32 v2, v12, s17, v11
	v_cmp_ne_u32_e32 vcc, 0, v2
	v_cndmask_b32_e64 v2, 0, 1, vcc
	v_lshrrev_b32_e32 v11, 8, v12
	v_bfe_u32 v13, v12, 20, 11
	v_and_or_b32 v11, v11, s14, v2
	v_sub_u32_e32 v14, 0x3f1, v13
	v_or_b32_e32 v2, 0x1000, v11
	v_med3_i32 v14, v14, 0, 13
	v_lshrrev_b32_e32 v16, v14, v2
	v_lshlrev_b32_e32 v14, v14, v16
	v_cmp_ne_u32_e32 vcc, v14, v2
	v_cndmask_b32_e64 v2, 0, 1, vcc
	v_or_b32_e32 v2, v16, v2
	v_add_u32_e32 v16, 0xfffffc10, v13
	v_lshl_or_b32 v13, v16, 12, v11
	v_cmp_gt_i32_e32 vcc, 1, v16
	v_cndmask_b32_e32 v2, v13, v2, vcc
	v_and_b32_e32 v13, 7, v2
	v_cmp_lt_i32_e32 vcc, 5, v13
	v_cmp_eq_u32_e64 s[2:3], 3, v13
	v_cvt_f64_f32_e32 v[13:14], v4
	v_lshrrev_b32_e32 v2, 2, v2
	s_or_b64 vcc, s[2:3], vcc
	v_addc_co_u32_e32 v15, vcc, 0, v2, vcc
	v_mul_f64 v[13:14], v[13:14], s[6:7]
	v_mov_b32_e32 v2, 0x7c00
	v_cmp_gt_i32_e32 vcc, 31, v16
	v_cndmask_b32_e32 v4, v2, v15, vcc
	v_cmp_ne_u32_e32 vcc, 0, v11
	v_cndmask_b32_e64 v11, 0, 1, vcc
	v_lshl_or_b32 v11, v11, 9, v2
	v_cmp_eq_u32_e32 vcc, s15, v16
	v_cndmask_b32_e32 v4, v4, v11, vcc
	v_lshrrev_b32_e32 v11, 16, v12
	v_and_or_b32 v17, v11, s16, v4
	v_and_or_b32 v4, v14, s17, v13
	v_cmp_ne_u32_e32 vcc, 0, v4
	v_cndmask_b32_e64 v4, 0, 1, vcc
	v_lshrrev_b32_e32 v11, 8, v14
	v_bfe_u32 v12, v14, 20, 11
	v_and_or_b32 v4, v11, s14, v4
	v_sub_u32_e32 v13, 0x3f1, v12
	v_or_b32_e32 v11, 0x1000, v4
	v_med3_i32 v13, v13, 0, 13
	v_lshrrev_b32_e32 v15, v13, v11
	v_lshlrev_b32_e32 v13, v13, v15
	v_cmp_ne_u32_e32 vcc, v13, v11
	v_cndmask_b32_e64 v11, 0, 1, vcc
	v_add_u32_e32 v13, 0xfffffc10, v12
	v_or_b32_e32 v11, v15, v11
	v_lshl_or_b32 v12, v13, 12, v4
	v_cmp_gt_i32_e32 vcc, 1, v13
	v_cndmask_b32_e32 v11, v12, v11, vcc
	v_and_b32_e32 v12, 7, v11
	v_cmp_lt_i32_e32 vcc, 5, v12
	v_cmp_eq_u32_e64 s[2:3], 3, v12
	v_lshrrev_b32_e32 v11, 2, v11
	s_or_b64 vcc, s[2:3], vcc
	v_addc_co_u32_e32 v11, vcc, 0, v11, vcc
	v_cmp_gt_i32_e32 vcc, 31, v13
	v_cndmask_b32_e32 v15, v2, v11, vcc
	v_cmp_ne_u32_e32 vcc, 0, v4
	v_cndmask_b32_e64 v4, 0, 1, vcc
	v_lshl_or_b32 v4, v4, 9, v2
	v_cmp_eq_u32_e32 vcc, s15, v13
	v_mad_u64_u32 v[11:12], s[2:3], s8, v132, 0
	v_cndmask_b32_e32 v18, v15, v4, vcc
	ds_read2_b32 v[15:16], v8 offset0:13 offset1:76
	v_mov_b32_e32 v4, v12
	v_mad_u64_u32 v[12:13], s[2:3], s9, v132, v[4:5]
	v_lshrrev_b32_e32 v14, 16, v14
	s_waitcnt lgkmcnt(0)
	v_lshrrev_b32_e32 v4, 16, v15
	v_mul_f16_sdwa v13, v133, v4 dst_sel:DWORD dst_unused:UNUSED_PAD src0_sel:WORD_1 src1_sel:DWORD
	v_fma_f16 v13, v133, v15, v13
	v_cvt_f32_f16_e32 v13, v13
	v_and_or_b32 v18, v14, s16, v18
	v_and_b32_e32 v17, 0xffff, v17
	v_lshl_or_b32 v17, v18, 16, v17
	v_cvt_f64_f32_e32 v[13:14], v13
	v_mov_b32_e32 v18, s13
	v_add_co_u32_e32 v19, vcc, s12, v9
	v_mul_f64 v[13:14], v[13:14], s[6:7]
	v_addc_co_u32_e32 v18, vcc, v18, v10, vcc
	v_lshlrev_b64 v[9:10], 2, v[11:12]
	v_mul_f16_sdwa v15, v133, v15 dst_sel:DWORD dst_unused:UNUSED_PAD src0_sel:WORD_1 src1_sel:DWORD
	v_add_co_u32_e32 v9, vcc, v19, v9
	v_addc_co_u32_e32 v10, vcc, v18, v10, vcc
	v_and_or_b32 v11, v14, s17, v13
	v_cmp_ne_u32_e32 vcc, 0, v11
	v_cndmask_b32_e64 v11, 0, 1, vcc
	v_lshrrev_b32_e32 v12, 8, v14
	v_and_or_b32 v13, v12, s14, v11
	v_bfe_u32 v12, v14, 20, 11
	global_store_dword v[9:10], v17, off
	v_sub_u32_e32 v17, 0x3f1, v12
	v_or_b32_e32 v11, 0x1000, v13
	v_med3_i32 v17, v17, 0, 13
	v_lshrrev_b32_e32 v18, v17, v11
	v_lshlrev_b32_e32 v17, v17, v18
	v_cmp_ne_u32_e32 vcc, v17, v11
	v_fma_f16 v4, v133, v4, -v15
	v_cndmask_b32_e64 v11, 0, 1, vcc
	v_add_u32_e32 v17, 0xfffffc10, v12
	v_cvt_f32_f16_e32 v4, v4
	v_or_b32_e32 v11, v18, v11
	v_lshl_or_b32 v12, v17, 12, v13
	v_cmp_gt_i32_e32 vcc, 1, v17
	v_cndmask_b32_e32 v11, v12, v11, vcc
	v_and_b32_e32 v12, 7, v11
	v_cmp_lt_i32_e32 vcc, 5, v12
	v_cmp_eq_u32_e64 s[2:3], 3, v12
	v_lshrrev_b32_e32 v15, 2, v11
	v_cvt_f64_f32_e32 v[11:12], v4
	s_or_b64 vcc, s[2:3], vcc
	v_addc_co_u32_e32 v4, vcc, 0, v15, vcc
	v_mul_f64 v[11:12], v[11:12], s[6:7]
	v_cmp_gt_i32_e32 vcc, 31, v17
	v_cndmask_b32_e32 v4, v2, v4, vcc
	v_cmp_ne_u32_e32 vcc, 0, v13
	v_cndmask_b32_e64 v13, 0, 1, vcc
	v_lshl_or_b32 v13, v13, 9, v2
	v_cmp_eq_u32_e32 vcc, s15, v17
	v_cndmask_b32_e32 v4, v4, v13, vcc
	v_and_or_b32 v11, v12, s17, v11
	v_lshrrev_b32_e32 v13, 16, v14
	v_cmp_ne_u32_e32 vcc, 0, v11
	v_and_or_b32 v4, v13, s16, v4
	v_cndmask_b32_e64 v11, 0, 1, vcc
	v_lshrrev_b32_e32 v13, 8, v12
	v_bfe_u32 v14, v12, 20, 11
	v_and_or_b32 v11, v13, s14, v11
	v_sub_u32_e32 v15, 0x3f1, v14
	v_or_b32_e32 v13, 0x1000, v11
	v_med3_i32 v15, v15, 0, 13
	v_lshrrev_b32_e32 v17, v15, v13
	v_lshlrev_b32_e32 v15, v15, v17
	v_cmp_ne_u32_e32 vcc, v15, v13
	v_cndmask_b32_e64 v13, 0, 1, vcc
	v_add_u32_e32 v15, 0xfffffc10, v14
	v_or_b32_e32 v13, v17, v13
	v_lshl_or_b32 v14, v15, 12, v11
	v_cmp_gt_i32_e32 vcc, 1, v15
	v_cndmask_b32_e32 v13, v14, v13, vcc
	v_and_b32_e32 v14, 7, v13
	v_cmp_lt_i32_e32 vcc, 5, v14
	v_cmp_eq_u32_e64 s[2:3], 3, v14
	v_lshrrev_b32_e32 v13, 2, v13
	s_or_b64 vcc, s[2:3], vcc
	v_addc_co_u32_e32 v13, vcc, 0, v13, vcc
	v_cmp_gt_i32_e32 vcc, 31, v15
	v_cndmask_b32_e32 v17, v2, v13, vcc
	ds_read2_b32 v[13:14], v7 offset0:26 offset1:89
	v_cmp_ne_u32_e32 vcc, 0, v11
	v_cndmask_b32_e64 v11, 0, 1, vcc
	v_lshl_or_b32 v11, v11, 9, v2
	v_cmp_eq_u32_e32 vcc, s15, v15
	v_cndmask_b32_e32 v11, v17, v11, vcc
	v_lshrrev_b32_e32 v12, 16, v12
	s_waitcnt lgkmcnt(0)
	v_lshrrev_b32_e32 v17, 16, v13
	v_and_or_b32 v15, v12, s16, v11
	v_mul_f16_sdwa v11, v131, v17 dst_sel:DWORD dst_unused:UNUSED_PAD src0_sel:WORD_1 src1_sel:DWORD
	v_fma_f16 v11, v131, v13, v11
	v_cvt_f32_f16_e32 v11, v11
	s_mul_i32 s2, s9, 0x20d
	s_mul_hi_u32 s3, s8, 0x20d
	s_add_i32 s3, s3, s2
	v_cvt_f64_f32_e32 v[11:12], v11
	s_mul_i32 s2, s8, 0x20d
	v_and_b32_e32 v4, 0xffff, v4
	s_lshl_b64 s[10:11], s[2:3], 2
	v_mul_f64 v[11:12], v[11:12], s[6:7]
	v_lshl_or_b32 v15, v15, 16, v4
	v_mov_b32_e32 v4, s11
	v_add_co_u32_e32 v9, vcc, s10, v9
	v_addc_co_u32_e32 v10, vcc, v10, v4, vcc
	global_store_dword v[9:10], v15, off
	v_and_or_b32 v11, v12, s17, v11
	v_cmp_ne_u32_e32 vcc, 0, v11
	v_cndmask_b32_e64 v11, 0, 1, vcc
	v_lshrrev_b32_e32 v15, 8, v12
	v_bfe_u32 v18, v12, 20, 11
	v_and_or_b32 v11, v15, s14, v11
	v_sub_u32_e32 v19, 0x3f1, v18
	v_or_b32_e32 v15, 0x1000, v11
	v_med3_i32 v19, v19, 0, 13
	v_lshrrev_b32_e32 v20, v19, v15
	v_lshlrev_b32_e32 v19, v19, v20
	v_mul_f16_sdwa v13, v131, v13 dst_sel:DWORD dst_unused:UNUSED_PAD src0_sel:WORD_1 src1_sel:DWORD
	v_cmp_ne_u32_e32 vcc, v19, v15
	v_fma_f16 v13, v131, v17, -v13
	v_cndmask_b32_e64 v15, 0, 1, vcc
	v_add_u32_e32 v19, 0xfffffc10, v18
	v_cvt_f32_f16_e32 v13, v13
	v_or_b32_e32 v15, v20, v15
	v_lshl_or_b32 v18, v19, 12, v11
	v_cmp_gt_i32_e32 vcc, 1, v19
	v_cndmask_b32_e32 v15, v18, v15, vcc
	v_and_b32_e32 v18, 7, v15
	v_cmp_lt_i32_e32 vcc, 5, v18
	v_cmp_eq_u32_e64 s[2:3], 3, v18
	v_cvt_f64_f32_e32 v[17:18], v13
	v_lshrrev_b32_e32 v15, 2, v15
	s_or_b64 vcc, s[2:3], vcc
	v_addc_co_u32_e32 v13, vcc, 0, v15, vcc
	v_mul_f64 v[17:18], v[17:18], s[6:7]
	v_cmp_gt_i32_e32 vcc, 31, v19
	v_cndmask_b32_e32 v13, v2, v13, vcc
	v_cmp_ne_u32_e32 vcc, 0, v11
	v_cndmask_b32_e64 v11, 0, 1, vcc
	v_lshl_or_b32 v11, v11, 9, v2
	v_cmp_eq_u32_e32 vcc, s15, v19
	v_cndmask_b32_e32 v11, v13, v11, vcc
	v_lshrrev_b32_e32 v12, 16, v12
	v_and_or_b32 v13, v12, s16, v11
	v_and_or_b32 v11, v18, s17, v17
	v_cmp_ne_u32_e32 vcc, 0, v11
	v_cndmask_b32_e64 v11, 0, 1, vcc
	v_lshrrev_b32_e32 v12, 8, v18
	v_bfe_u32 v15, v18, 20, 11
	v_and_or_b32 v11, v12, s14, v11
	v_sub_u32_e32 v17, 0x3f1, v15
	v_or_b32_e32 v12, 0x1000, v11
	v_med3_i32 v17, v17, 0, 13
	v_lshrrev_b32_e32 v19, v17, v12
	v_lshlrev_b32_e32 v17, v17, v19
	v_cmp_ne_u32_e32 vcc, v17, v12
	v_cndmask_b32_e64 v12, 0, 1, vcc
	v_add_u32_e32 v15, 0xfffffc10, v15
	v_or_b32_e32 v12, v19, v12
	v_lshl_or_b32 v17, v15, 12, v11
	v_cmp_gt_i32_e32 vcc, 1, v15
	v_cndmask_b32_e32 v12, v17, v12, vcc
	v_and_b32_e32 v17, 7, v12
	v_cmp_lt_i32_e32 vcc, 5, v17
	v_cmp_eq_u32_e64 s[2:3], 3, v17
	v_lshrrev_b32_e32 v12, 2, v12
	s_or_b64 vcc, s[2:3], vcc
	v_addc_co_u32_e32 v12, vcc, 0, v12, vcc
	v_cmp_gt_i32_e32 vcc, 31, v15
	v_lshrrev_b32_e32 v19, 16, v5
	v_cndmask_b32_e32 v17, v2, v12, vcc
	v_mul_f16_sdwa v12, v130, v19 dst_sel:DWORD dst_unused:UNUSED_PAD src0_sel:WORD_1 src1_sel:DWORD
	v_fma_f16 v12, v130, v5, v12
	v_cvt_f32_f16_e32 v12, v12
	v_cmp_ne_u32_e32 vcc, 0, v11
	v_cndmask_b32_e64 v11, 0, 1, vcc
	v_lshl_or_b32 v20, v11, 9, v2
	v_cvt_f64_f32_e32 v[11:12], v12
	v_cmp_eq_u32_e32 vcc, s15, v15
	v_cndmask_b32_e32 v15, v17, v20, vcc
	v_lshrrev_b32_e32 v17, 16, v18
	v_mul_f64 v[11:12], v[11:12], s[6:7]
	v_add_co_u32_e32 v9, vcc, s10, v9
	v_and_or_b32 v15, v17, s16, v15
	v_and_b32_e32 v13, 0xffff, v13
	v_addc_co_u32_e32 v10, vcc, v10, v4, vcc
	v_lshl_or_b32 v13, v15, 16, v13
	v_and_or_b32 v11, v12, s17, v11
	v_cmp_ne_u32_e32 vcc, 0, v11
	global_store_dword v[9:10], v13, off
	v_cndmask_b32_e64 v11, 0, 1, vcc
	v_lshrrev_b32_e32 v13, 8, v12
	v_bfe_u32 v15, v12, 20, 11
	v_and_or_b32 v11, v13, s14, v11
	v_sub_u32_e32 v17, 0x3f1, v15
	v_or_b32_e32 v13, 0x1000, v11
	v_med3_i32 v17, v17, 0, 13
	v_lshrrev_b32_e32 v18, v17, v13
	v_lshlrev_b32_e32 v17, v17, v18
	v_mul_f16_sdwa v5, v130, v5 dst_sel:DWORD dst_unused:UNUSED_PAD src0_sel:WORD_1 src1_sel:DWORD
	v_cmp_ne_u32_e32 vcc, v17, v13
	v_fma_f16 v5, v130, v19, -v5
	v_cndmask_b32_e64 v13, 0, 1, vcc
	v_add_u32_e32 v15, 0xfffffc10, v15
	v_cvt_f32_f16_e32 v5, v5
	v_or_b32_e32 v13, v18, v13
	v_lshl_or_b32 v17, v15, 12, v11
	v_cmp_gt_i32_e32 vcc, 1, v15
	v_cndmask_b32_e32 v13, v17, v13, vcc
	v_and_b32_e32 v17, 7, v13
	v_cmp_lt_i32_e32 vcc, 5, v17
	v_cmp_eq_u32_e64 s[2:3], 3, v17
	v_cvt_f64_f32_e32 v[17:18], v5
	v_lshrrev_b32_e32 v13, 2, v13
	s_or_b64 vcc, s[2:3], vcc
	v_addc_co_u32_e32 v5, vcc, 0, v13, vcc
	v_mul_f64 v[17:18], v[17:18], s[6:7]
	v_cmp_gt_i32_e32 vcc, 31, v15
	v_cndmask_b32_e32 v5, v2, v5, vcc
	v_cmp_ne_u32_e32 vcc, 0, v11
	v_cndmask_b32_e64 v11, 0, 1, vcc
	v_lshl_or_b32 v11, v11, 9, v2
	v_cmp_eq_u32_e32 vcc, s15, v15
	v_cndmask_b32_e32 v5, v5, v11, vcc
	v_lshrrev_b32_e32 v11, 16, v12
	v_and_or_b32 v5, v11, s16, v5
	v_and_or_b32 v11, v18, s17, v17
	v_cmp_ne_u32_e32 vcc, 0, v11
	v_cndmask_b32_e64 v11, 0, 1, vcc
	v_lshrrev_b32_e32 v12, 8, v18
	v_bfe_u32 v13, v18, 20, 11
	v_and_or_b32 v11, v12, s14, v11
	v_sub_u32_e32 v15, 0x3f1, v13
	v_or_b32_e32 v12, 0x1000, v11
	v_med3_i32 v15, v15, 0, 13
	v_lshrrev_b32_e32 v17, v15, v12
	v_lshlrev_b32_e32 v15, v15, v17
	v_cmp_ne_u32_e32 vcc, v15, v12
	v_cndmask_b32_e64 v12, 0, 1, vcc
	v_add_u32_e32 v13, 0xfffffc10, v13
	v_or_b32_e32 v12, v17, v12
	v_lshl_or_b32 v15, v13, 12, v11
	v_cmp_gt_i32_e32 vcc, 1, v13
	v_cndmask_b32_e32 v12, v15, v12, vcc
	v_and_b32_e32 v15, 7, v12
	v_cmp_lt_i32_e32 vcc, 5, v15
	v_cmp_eq_u32_e64 s[2:3], 3, v15
	v_lshrrev_b32_e32 v12, 2, v12
	s_or_b64 vcc, s[2:3], vcc
	v_addc_co_u32_e32 v12, vcc, 0, v12, vcc
	v_cmp_gt_i32_e32 vcc, 31, v13
	v_cndmask_b32_e32 v12, v2, v12, vcc
	v_cmp_ne_u32_e32 vcc, 0, v11
	v_cndmask_b32_e64 v11, 0, 1, vcc
	v_lshl_or_b32 v11, v11, 9, v2
	v_cmp_eq_u32_e32 vcc, s15, v13
	v_cndmask_b32_e32 v11, v12, v11, vcc
	v_lshrrev_b32_e32 v12, 16, v18
	v_lshrrev_b32_e32 v15, 16, v16
	v_and_or_b32 v13, v12, s16, v11
	v_mul_f16_sdwa v11, v129, v15 dst_sel:DWORD dst_unused:UNUSED_PAD src0_sel:WORD_1 src1_sel:DWORD
	v_fma_f16 v11, v129, v16, v11
	v_cvt_f32_f16_e32 v11, v11
	s_mul_hi_u32 s3, s8, 0xfffffc25
	s_mul_i32 s2, s9, 0xfffffc25
	s_sub_i32 s3, s3, s8
	v_cvt_f64_f32_e32 v[11:12], v11
	s_add_i32 s3, s3, s2
	s_mul_i32 s2, s8, 0xfffffc25
	v_and_b32_e32 v5, 0xffff, v5
	v_mul_f64 v[11:12], v[11:12], s[6:7]
	s_lshl_b64 s[4:5], s[2:3], 2
	v_lshl_or_b32 v13, v13, 16, v5
	v_mov_b32_e32 v5, s5
	v_add_co_u32_e32 v9, vcc, s4, v9
	v_addc_co_u32_e32 v10, vcc, v10, v5, vcc
	v_and_or_b32 v11, v12, s17, v11
	v_cmp_ne_u32_e32 vcc, 0, v11
	global_store_dword v[9:10], v13, off
	v_cndmask_b32_e64 v11, 0, 1, vcc
	v_lshrrev_b32_e32 v13, 8, v12
	v_bfe_u32 v17, v12, 20, 11
	v_mul_f16_sdwa v16, v129, v16 dst_sel:DWORD dst_unused:UNUSED_PAD src0_sel:WORD_1 src1_sel:DWORD
	v_and_or_b32 v11, v13, s14, v11
	v_sub_u32_e32 v18, 0x3f1, v17
	v_fma_f16 v15, v129, v15, -v16
	v_or_b32_e32 v13, 0x1000, v11
	v_med3_i32 v18, v18, 0, 13
	v_cvt_f32_f16_e32 v15, v15
	v_lshrrev_b32_e32 v19, v18, v13
	v_lshlrev_b32_e32 v18, v18, v19
	v_cmp_ne_u32_e32 vcc, v18, v13
	v_cndmask_b32_e64 v13, 0, 1, vcc
	v_add_u32_e32 v17, 0xfffffc10, v17
	v_cvt_f64_f32_e32 v[15:16], v15
	v_or_b32_e32 v13, v19, v13
	v_lshl_or_b32 v18, v17, 12, v11
	v_cmp_gt_i32_e32 vcc, 1, v17
	v_cndmask_b32_e32 v13, v18, v13, vcc
	v_and_b32_e32 v18, 7, v13
	v_cmp_lt_i32_e32 vcc, 5, v18
	v_cmp_eq_u32_e64 s[2:3], 3, v18
	v_mul_f64 v[15:16], v[15:16], s[6:7]
	v_lshrrev_b32_e32 v13, 2, v13
	s_or_b64 vcc, s[2:3], vcc
	v_addc_co_u32_e32 v13, vcc, 0, v13, vcc
	v_cmp_gt_i32_e32 vcc, 31, v17
	v_cndmask_b32_e32 v13, v2, v13, vcc
	v_cmp_ne_u32_e32 vcc, 0, v11
	v_cndmask_b32_e64 v11, 0, 1, vcc
	v_lshl_or_b32 v11, v11, 9, v2
	v_cmp_eq_u32_e32 vcc, s15, v17
	v_cndmask_b32_e32 v11, v13, v11, vcc
	v_lshrrev_b32_e32 v12, 16, v12
	v_and_or_b32 v13, v12, s16, v11
	v_and_or_b32 v11, v16, s17, v15
	v_cmp_ne_u32_e32 vcc, 0, v11
	v_cndmask_b32_e64 v11, 0, 1, vcc
	v_lshrrev_b32_e32 v12, 8, v16
	v_bfe_u32 v15, v16, 20, 11
	v_and_or_b32 v11, v12, s14, v11
	v_sub_u32_e32 v17, 0x3f1, v15
	v_or_b32_e32 v12, 0x1000, v11
	v_med3_i32 v17, v17, 0, 13
	v_lshrrev_b32_e32 v18, v17, v12
	v_lshlrev_b32_e32 v17, v17, v18
	v_cmp_ne_u32_e32 vcc, v17, v12
	v_cndmask_b32_e64 v12, 0, 1, vcc
	v_add_u32_e32 v15, 0xfffffc10, v15
	v_or_b32_e32 v12, v18, v12
	v_lshl_or_b32 v17, v15, 12, v11
	v_cmp_gt_i32_e32 vcc, 1, v15
	v_cndmask_b32_e32 v12, v17, v12, vcc
	v_and_b32_e32 v17, 7, v12
	v_cmp_lt_i32_e32 vcc, 5, v17
	v_cmp_eq_u32_e64 s[2:3], 3, v17
	v_lshrrev_b32_e32 v12, 2, v12
	s_or_b64 vcc, s[2:3], vcc
	v_addc_co_u32_e32 v12, vcc, 0, v12, vcc
	v_cmp_gt_i32_e32 vcc, 31, v15
	v_lshrrev_b32_e32 v18, 16, v14
	v_cndmask_b32_e32 v17, v2, v12, vcc
	v_mul_f16_sdwa v12, v128, v18 dst_sel:DWORD dst_unused:UNUSED_PAD src0_sel:WORD_1 src1_sel:DWORD
	v_fma_f16 v12, v128, v14, v12
	v_cvt_f32_f16_e32 v12, v12
	v_cmp_ne_u32_e32 vcc, 0, v11
	v_cndmask_b32_e64 v11, 0, 1, vcc
	v_lshl_or_b32 v19, v11, 9, v2
	v_cvt_f64_f32_e32 v[11:12], v12
	v_cmp_eq_u32_e32 vcc, s15, v15
	v_cndmask_b32_e32 v15, v17, v19, vcc
	v_lshrrev_b32_e32 v16, 16, v16
	v_mul_f64 v[11:12], v[11:12], s[6:7]
	v_add_co_u32_e32 v9, vcc, s10, v9
	v_and_or_b32 v15, v16, s16, v15
	v_and_b32_e32 v13, 0xffff, v13
	v_addc_co_u32_e32 v10, vcc, v10, v4, vcc
	v_lshl_or_b32 v13, v15, 16, v13
	v_and_or_b32 v11, v12, s17, v11
	v_cmp_ne_u32_e32 vcc, 0, v11
	global_store_dword v[9:10], v13, off
	v_cndmask_b32_e64 v11, 0, 1, vcc
	v_lshrrev_b32_e32 v13, 8, v12
	v_bfe_u32 v15, v12, 20, 11
	v_and_or_b32 v11, v13, s14, v11
	v_sub_u32_e32 v16, 0x3f1, v15
	v_or_b32_e32 v13, 0x1000, v11
	v_med3_i32 v16, v16, 0, 13
	v_lshrrev_b32_e32 v17, v16, v13
	v_lshlrev_b32_e32 v16, v16, v17
	v_mul_f16_sdwa v14, v128, v14 dst_sel:DWORD dst_unused:UNUSED_PAD src0_sel:WORD_1 src1_sel:DWORD
	v_cmp_ne_u32_e32 vcc, v16, v13
	v_fma_f16 v14, v128, v18, -v14
	v_cndmask_b32_e64 v13, 0, 1, vcc
	v_add_u32_e32 v15, 0xfffffc10, v15
	v_cvt_f32_f16_e32 v14, v14
	v_or_b32_e32 v13, v17, v13
	v_lshl_or_b32 v16, v15, 12, v11
	v_cmp_gt_i32_e32 vcc, 1, v15
	v_cndmask_b32_e32 v13, v16, v13, vcc
	v_and_b32_e32 v16, 7, v13
	v_cmp_lt_i32_e32 vcc, 5, v16
	v_cmp_eq_u32_e64 s[2:3], 3, v16
	v_lshrrev_b32_e32 v16, 2, v13
	v_cvt_f64_f32_e32 v[13:14], v14
	s_or_b64 vcc, s[2:3], vcc
	v_addc_co_u32_e32 v16, vcc, 0, v16, vcc
	v_mul_f64 v[13:14], v[13:14], s[6:7]
	v_cmp_gt_i32_e32 vcc, 31, v15
	v_cndmask_b32_e32 v16, v2, v16, vcc
	v_cmp_ne_u32_e32 vcc, 0, v11
	v_cndmask_b32_e64 v11, 0, 1, vcc
	v_lshl_or_b32 v11, v11, 9, v2
	v_cmp_eq_u32_e32 vcc, s15, v15
	v_cndmask_b32_e32 v11, v16, v11, vcc
	v_lshrrev_b32_e32 v12, 16, v12
	v_and_or_b32 v17, v12, s16, v11
	v_and_or_b32 v11, v14, s17, v13
	v_cmp_ne_u32_e32 vcc, 0, v11
	v_cndmask_b32_e64 v11, 0, 1, vcc
	v_lshrrev_b32_e32 v12, 8, v14
	v_and_or_b32 v13, v12, s14, v11
	v_bfe_u32 v12, v14, 20, 11
	v_sub_u32_e32 v15, 0x3f1, v12
	v_or_b32_e32 v11, 0x1000, v13
	v_med3_i32 v15, v15, 0, 13
	v_lshrrev_b32_e32 v16, v15, v11
	v_lshlrev_b32_e32 v15, v15, v16
	v_cmp_ne_u32_e32 vcc, v15, v11
	v_cndmask_b32_e64 v11, 0, 1, vcc
	v_add_u32_e32 v18, 0xfffffc10, v12
	v_or_b32_e32 v11, v16, v11
	v_lshl_or_b32 v12, v18, 12, v13
	v_cmp_gt_i32_e32 vcc, 1, v18
	v_cndmask_b32_e32 v11, v12, v11, vcc
	v_and_b32_e32 v12, 7, v11
	v_cmp_lt_i32_e32 vcc, 5, v12
	v_cmp_eq_u32_e64 s[2:3], 3, v12
	v_lshrrev_b32_e32 v15, 2, v11
	ds_read2_b32 v[11:12], v109 offset0:126 offset1:189
	s_or_b64 vcc, s[2:3], vcc
	v_addc_co_u32_e32 v15, vcc, 0, v15, vcc
	v_cmp_gt_i32_e32 vcc, 31, v18
	s_waitcnt lgkmcnt(0)
	v_lshrrev_b32_e32 v20, 16, v11
	v_cndmask_b32_e32 v19, v2, v15, vcc
	v_mul_f16_sdwa v15, v127, v20 dst_sel:DWORD dst_unused:UNUSED_PAD src0_sel:WORD_1 src1_sel:DWORD
	v_fma_f16 v15, v127, v11, v15
	v_cvt_f32_f16_e32 v15, v15
	v_cmp_ne_u32_e32 vcc, 0, v13
	v_cndmask_b32_e64 v13, 0, 1, vcc
	v_lshl_or_b32 v13, v13, 9, v2
	v_cvt_f64_f32_e32 v[15:16], v15
	v_cmp_eq_u32_e32 vcc, s15, v18
	v_cndmask_b32_e32 v13, v19, v13, vcc
	v_lshrrev_b32_e32 v14, 16, v14
	v_and_or_b32 v18, v14, s16, v13
	v_mul_f64 v[13:14], v[15:16], s[6:7]
	v_add_co_u32_e32 v9, vcc, s10, v9
	v_and_b32_e32 v15, 0xffff, v17
	v_addc_co_u32_e32 v10, vcc, v10, v4, vcc
	v_lshl_or_b32 v15, v18, 16, v15
	global_store_dword v[9:10], v15, off
	v_and_or_b32 v13, v14, s17, v13
	v_cmp_ne_u32_e32 vcc, 0, v13
	v_cndmask_b32_e64 v13, 0, 1, vcc
	v_lshrrev_b32_e32 v15, 8, v14
	v_bfe_u32 v16, v14, 20, 11
	v_and_or_b32 v13, v15, s14, v13
	v_sub_u32_e32 v17, 0x3f1, v16
	v_or_b32_e32 v15, 0x1000, v13
	v_med3_i32 v17, v17, 0, 13
	v_lshrrev_b32_e32 v18, v17, v15
	v_lshlrev_b32_e32 v17, v17, v18
	v_mul_f16_sdwa v11, v127, v11 dst_sel:DWORD dst_unused:UNUSED_PAD src0_sel:WORD_1 src1_sel:DWORD
	v_cmp_ne_u32_e32 vcc, v17, v15
	v_fma_f16 v11, v127, v20, -v11
	v_cndmask_b32_e64 v15, 0, 1, vcc
	v_add_u32_e32 v17, 0xfffffc10, v16
	v_cvt_f32_f16_e32 v11, v11
	v_or_b32_e32 v15, v18, v15
	v_lshl_or_b32 v16, v17, 12, v13
	v_cmp_gt_i32_e32 vcc, 1, v17
	v_cndmask_b32_e32 v15, v16, v15, vcc
	v_and_b32_e32 v16, 7, v15
	v_cmp_lt_i32_e32 vcc, 5, v16
	v_cmp_eq_u32_e64 s[2:3], 3, v16
	v_lshrrev_b32_e32 v18, 2, v15
	v_cvt_f64_f32_e32 v[15:16], v11
	s_or_b64 vcc, s[2:3], vcc
	v_addc_co_u32_e32 v11, vcc, 0, v18, vcc
	v_mul_f64 v[15:16], v[15:16], s[6:7]
	v_cmp_gt_i32_e32 vcc, 31, v17
	v_cndmask_b32_e32 v11, v2, v11, vcc
	v_cmp_ne_u32_e32 vcc, 0, v13
	v_cndmask_b32_e64 v13, 0, 1, vcc
	v_lshl_or_b32 v13, v13, 9, v2
	v_cmp_eq_u32_e32 vcc, s15, v17
	v_cndmask_b32_e32 v11, v11, v13, vcc
	v_lshrrev_b32_e32 v13, 16, v14
	v_and_or_b32 v11, v13, s16, v11
	v_and_or_b32 v13, v16, s17, v15
	v_cmp_ne_u32_e32 vcc, 0, v13
	v_cndmask_b32_e64 v13, 0, 1, vcc
	v_lshrrev_b32_e32 v14, 8, v16
	v_and_or_b32 v15, v14, s14, v13
	v_bfe_u32 v14, v16, 20, 11
	v_sub_u32_e32 v17, 0x3f1, v14
	v_or_b32_e32 v13, 0x1000, v15
	v_med3_i32 v17, v17, 0, 13
	v_lshrrev_b32_e32 v18, v17, v13
	v_lshlrev_b32_e32 v17, v17, v18
	v_cmp_ne_u32_e32 vcc, v17, v13
	v_cndmask_b32_e64 v13, 0, 1, vcc
	v_add_u32_e32 v19, 0xfffffc10, v14
	v_or_b32_e32 v13, v18, v13
	v_lshl_or_b32 v14, v19, 12, v15
	v_cmp_gt_i32_e32 vcc, 1, v19
	v_cndmask_b32_e32 v13, v14, v13, vcc
	v_and_b32_e32 v14, 7, v13
	v_cmp_lt_i32_e32 vcc, 5, v14
	v_cmp_eq_u32_e64 s[2:3], 3, v14
	v_lshrrev_b32_e32 v17, 2, v13
	ds_read2_b32 v[13:14], v8 offset0:139 offset1:202
	s_or_b64 vcc, s[2:3], vcc
	v_addc_co_u32_e32 v8, vcc, 0, v17, vcc
	v_cmp_gt_i32_e32 vcc, 31, v19
	s_waitcnt lgkmcnt(0)
	v_lshrrev_b32_e32 v20, 16, v13
	v_mul_f16_sdwa v17, v126, v20 dst_sel:DWORD dst_unused:UNUSED_PAD src0_sel:WORD_1 src1_sel:DWORD
	v_fma_f16 v17, v126, v13, v17
	v_cvt_f32_f16_e32 v17, v17
	v_cndmask_b32_e32 v8, v2, v8, vcc
	v_cmp_ne_u32_e32 vcc, 0, v15
	v_cndmask_b32_e64 v15, 0, 1, vcc
	v_cvt_f64_f32_e32 v[17:18], v17
	v_lshl_or_b32 v15, v15, 9, v2
	v_cmp_eq_u32_e32 vcc, s15, v19
	v_cndmask_b32_e32 v8, v8, v15, vcc
	v_lshrrev_b32_e32 v15, 16, v16
	v_and_or_b32 v8, v15, s16, v8
	v_mul_f64 v[15:16], v[17:18], s[6:7]
	v_and_b32_e32 v11, 0xffff, v11
	v_lshl_or_b32 v11, v8, 16, v11
	v_add_co_u32_e32 v8, vcc, s4, v9
	v_addc_co_u32_e32 v9, vcc, v10, v5, vcc
	global_store_dword v[8:9], v11, off
	v_and_or_b32 v10, v16, s17, v15
	v_cmp_ne_u32_e32 vcc, 0, v10
	v_cndmask_b32_e64 v10, 0, 1, vcc
	v_lshrrev_b32_e32 v11, 8, v16
	v_and_or_b32 v15, v11, s14, v10
	v_bfe_u32 v11, v16, 20, 11
	v_sub_u32_e32 v17, 0x3f1, v11
	v_or_b32_e32 v10, 0x1000, v15
	v_med3_i32 v17, v17, 0, 13
	v_lshrrev_b32_e32 v18, v17, v10
	v_lshlrev_b32_e32 v17, v17, v18
	v_mul_f16_sdwa v13, v126, v13 dst_sel:DWORD dst_unused:UNUSED_PAD src0_sel:WORD_1 src1_sel:DWORD
	v_cmp_ne_u32_e32 vcc, v17, v10
	v_fma_f16 v13, v126, v20, -v13
	v_cndmask_b32_e64 v10, 0, 1, vcc
	v_add_u32_e32 v17, 0xfffffc10, v11
	v_cvt_f32_f16_e32 v13, v13
	v_or_b32_e32 v10, v18, v10
	v_lshl_or_b32 v11, v17, 12, v15
	v_cmp_gt_i32_e32 vcc, 1, v17
	v_cndmask_b32_e32 v10, v11, v10, vcc
	v_and_b32_e32 v11, 7, v10
	v_cmp_lt_i32_e32 vcc, 5, v11
	v_cmp_eq_u32_e64 s[2:3], 3, v11
	v_lshrrev_b32_e32 v18, 2, v10
	v_cvt_f64_f32_e32 v[10:11], v13
	s_or_b64 vcc, s[2:3], vcc
	v_addc_co_u32_e32 v13, vcc, 0, v18, vcc
	v_mul_f64 v[10:11], v[10:11], s[6:7]
	v_cmp_gt_i32_e32 vcc, 31, v17
	v_cndmask_b32_e32 v13, v2, v13, vcc
	v_cmp_ne_u32_e32 vcc, 0, v15
	v_cndmask_b32_e64 v15, 0, 1, vcc
	v_lshl_or_b32 v15, v15, 9, v2
	v_cmp_eq_u32_e32 vcc, s15, v17
	v_cndmask_b32_e32 v13, v13, v15, vcc
	v_and_or_b32 v10, v11, s17, v10
	v_lshrrev_b32_e32 v15, 16, v16
	v_cmp_ne_u32_e32 vcc, 0, v10
	v_and_or_b32 v13, v15, s16, v13
	v_cndmask_b32_e64 v10, 0, 1, vcc
	v_lshrrev_b32_e32 v15, 8, v11
	v_bfe_u32 v16, v11, 20, 11
	v_and_or_b32 v10, v15, s14, v10
	v_sub_u32_e32 v17, 0x3f1, v16
	v_or_b32_e32 v15, 0x1000, v10
	v_med3_i32 v17, v17, 0, 13
	v_lshrrev_b32_e32 v18, v17, v15
	v_lshlrev_b32_e32 v17, v17, v18
	v_cmp_ne_u32_e32 vcc, v17, v15
	v_cndmask_b32_e64 v15, 0, 1, vcc
	v_add_u32_e32 v19, 0xfffffc10, v16
	v_or_b32_e32 v15, v18, v15
	v_lshl_or_b32 v16, v19, 12, v10
	v_cmp_gt_i32_e32 vcc, 1, v19
	v_cndmask_b32_e32 v15, v16, v15, vcc
	v_and_b32_e32 v16, 7, v15
	v_cmp_lt_i32_e32 vcc, 5, v16
	v_cmp_eq_u32_e64 s[2:3], 3, v16
	v_lshrrev_b32_e32 v17, 2, v15
	ds_read2_b32 v[15:16], v7 offset0:152 offset1:215
	s_or_b64 vcc, s[2:3], vcc
	v_addc_co_u32_e32 v7, vcc, 0, v17, vcc
	v_cmp_gt_i32_e32 vcc, 31, v19
	s_waitcnt lgkmcnt(0)
	v_lshrrev_b32_e32 v20, 16, v15
	v_mul_f16_sdwa v17, v125, v20 dst_sel:DWORD dst_unused:UNUSED_PAD src0_sel:WORD_1 src1_sel:DWORD
	v_fma_f16 v17, v125, v15, v17
	v_cvt_f32_f16_e32 v17, v17
	v_cndmask_b32_e32 v7, v2, v7, vcc
	v_cmp_ne_u32_e32 vcc, 0, v10
	v_cndmask_b32_e64 v10, 0, 1, vcc
	v_cvt_f64_f32_e32 v[17:18], v17
	v_lshl_or_b32 v10, v10, 9, v2
	v_cmp_eq_u32_e32 vcc, s15, v19
	v_cndmask_b32_e32 v7, v7, v10, vcc
	v_lshrrev_b32_e32 v10, 16, v11
	v_and_or_b32 v7, v10, s16, v7
	v_mul_f64 v[10:11], v[17:18], s[6:7]
	v_and_b32_e32 v13, 0xffff, v13
	v_lshl_or_b32 v13, v7, 16, v13
	v_add_co_u32_e32 v7, vcc, s10, v8
	v_addc_co_u32_e32 v8, vcc, v9, v4, vcc
	global_store_dword v[7:8], v13, off
	v_and_or_b32 v9, v11, s17, v10
	v_cmp_ne_u32_e32 vcc, 0, v9
	v_cndmask_b32_e64 v9, 0, 1, vcc
	v_lshrrev_b32_e32 v10, 8, v11
	v_and_or_b32 v13, v10, s14, v9
	v_bfe_u32 v10, v11, 20, 11
	v_sub_u32_e32 v17, 0x3f1, v10
	v_or_b32_e32 v9, 0x1000, v13
	v_med3_i32 v17, v17, 0, 13
	v_lshrrev_b32_e32 v18, v17, v9
	v_lshlrev_b32_e32 v17, v17, v18
	v_mul_f16_sdwa v15, v125, v15 dst_sel:DWORD dst_unused:UNUSED_PAD src0_sel:WORD_1 src1_sel:DWORD
	v_cmp_ne_u32_e32 vcc, v17, v9
	v_fma_f16 v15, v125, v20, -v15
	v_cndmask_b32_e64 v9, 0, 1, vcc
	v_add_u32_e32 v17, 0xfffffc10, v10
	v_cvt_f32_f16_e32 v15, v15
	v_or_b32_e32 v9, v18, v9
	v_lshl_or_b32 v10, v17, 12, v13
	v_cmp_gt_i32_e32 vcc, 1, v17
	v_cndmask_b32_e32 v9, v10, v9, vcc
	v_and_b32_e32 v10, 7, v9
	v_cmp_lt_i32_e32 vcc, 5, v10
	v_cmp_eq_u32_e64 s[2:3], 3, v10
	v_lshrrev_b32_e32 v18, 2, v9
	v_cvt_f64_f32_e32 v[9:10], v15
	s_or_b64 vcc, s[2:3], vcc
	v_addc_co_u32_e32 v15, vcc, 0, v18, vcc
	v_mul_f64 v[9:10], v[9:10], s[6:7]
	v_cmp_gt_i32_e32 vcc, 31, v17
	v_cndmask_b32_e32 v15, v2, v15, vcc
	v_cmp_ne_u32_e32 vcc, 0, v13
	v_cndmask_b32_e64 v13, 0, 1, vcc
	v_lshl_or_b32 v13, v13, 9, v2
	v_cmp_eq_u32_e32 vcc, s15, v17
	v_cndmask_b32_e32 v13, v15, v13, vcc
	v_and_or_b32 v9, v10, s17, v9
	v_lshrrev_b32_e32 v11, 16, v11
	v_cmp_ne_u32_e32 vcc, 0, v9
	v_and_or_b32 v11, v11, s16, v13
	v_cndmask_b32_e64 v9, 0, 1, vcc
	v_lshrrev_b32_e32 v13, 8, v10
	v_bfe_u32 v15, v10, 20, 11
	v_and_or_b32 v9, v13, s14, v9
	v_sub_u32_e32 v17, 0x3f1, v15
	v_or_b32_e32 v13, 0x1000, v9
	v_med3_i32 v17, v17, 0, 13
	v_lshrrev_b32_e32 v18, v17, v13
	v_lshlrev_b32_e32 v17, v17, v18
	v_cmp_ne_u32_e32 vcc, v17, v13
	v_cndmask_b32_e64 v13, 0, 1, vcc
	v_add_u32_e32 v15, 0xfffffc10, v15
	v_or_b32_e32 v13, v18, v13
	v_lshl_or_b32 v17, v15, 12, v9
	v_cmp_gt_i32_e32 vcc, 1, v15
	v_cndmask_b32_e32 v13, v17, v13, vcc
	v_and_b32_e32 v17, 7, v13
	v_lshrrev_b32_e32 v19, 16, v12
	v_cmp_lt_i32_e32 vcc, 5, v17
	v_cmp_eq_u32_e64 s[2:3], 3, v17
	v_mul_f16_sdwa v17, v123, v19 dst_sel:DWORD dst_unused:UNUSED_PAD src0_sel:WORD_1 src1_sel:DWORD
	v_fma_f16 v17, v123, v12, v17
	v_cvt_f32_f16_e32 v17, v17
	v_lshrrev_b32_e32 v13, 2, v13
	s_or_b64 vcc, s[2:3], vcc
	v_addc_co_u32_e32 v13, vcc, 0, v13, vcc
	v_cmp_gt_i32_e32 vcc, 31, v15
	v_cndmask_b32_e32 v13, v2, v13, vcc
	v_cmp_ne_u32_e32 vcc, 0, v9
	v_cvt_f64_f32_e32 v[17:18], v17
	v_cndmask_b32_e64 v9, 0, 1, vcc
	v_lshl_or_b32 v9, v9, 9, v2
	v_cmp_eq_u32_e32 vcc, s15, v15
	v_cndmask_b32_e32 v9, v13, v9, vcc
	v_lshrrev_b32_e32 v10, 16, v10
	v_and_or_b32 v13, v10, s16, v9
	v_mul_f64 v[9:10], v[17:18], s[6:7]
	v_add_co_u32_e32 v7, vcc, s10, v7
	v_and_b32_e32 v11, 0xffff, v11
	v_addc_co_u32_e32 v8, vcc, v8, v4, vcc
	v_lshl_or_b32 v11, v13, 16, v11
	global_store_dword v[7:8], v11, off
	v_and_or_b32 v9, v10, s17, v9
	v_cmp_ne_u32_e32 vcc, 0, v9
	v_cndmask_b32_e64 v9, 0, 1, vcc
	v_lshrrev_b32_e32 v11, 8, v10
	v_bfe_u32 v13, v10, 20, 11
	v_and_or_b32 v9, v11, s14, v9
	v_sub_u32_e32 v15, 0x3f1, v13
	v_or_b32_e32 v11, 0x1000, v9
	v_med3_i32 v15, v15, 0, 13
	v_lshrrev_b32_e32 v17, v15, v11
	v_lshlrev_b32_e32 v15, v15, v17
	v_mul_f16_sdwa v12, v123, v12 dst_sel:DWORD dst_unused:UNUSED_PAD src0_sel:WORD_1 src1_sel:DWORD
	v_cmp_ne_u32_e32 vcc, v15, v11
	v_fma_f16 v12, v123, v19, -v12
	v_cndmask_b32_e64 v11, 0, 1, vcc
	v_add_u32_e32 v13, 0xfffffc10, v13
	v_cvt_f32_f16_e32 v12, v12
	v_or_b32_e32 v11, v17, v11
	v_lshl_or_b32 v15, v13, 12, v9
	v_cmp_gt_i32_e32 vcc, 1, v13
	v_cndmask_b32_e32 v11, v15, v11, vcc
	v_and_b32_e32 v15, 7, v11
	v_cmp_lt_i32_e32 vcc, 5, v15
	v_cmp_eq_u32_e64 s[2:3], 3, v15
	v_lshrrev_b32_e32 v15, 2, v11
	v_cvt_f64_f32_e32 v[11:12], v12
	s_or_b64 vcc, s[2:3], vcc
	v_addc_co_u32_e32 v15, vcc, 0, v15, vcc
	v_mul_f64 v[11:12], v[11:12], s[6:7]
	v_cmp_gt_i32_e32 vcc, 31, v13
	v_cndmask_b32_e32 v15, v2, v15, vcc
	v_cmp_ne_u32_e32 vcc, 0, v9
	v_cndmask_b32_e64 v9, 0, 1, vcc
	v_lshl_or_b32 v9, v9, 9, v2
	v_cmp_eq_u32_e32 vcc, s15, v13
	v_cndmask_b32_e32 v9, v15, v9, vcc
	v_lshrrev_b32_e32 v10, 16, v10
	v_and_or_b32 v13, v10, s16, v9
	v_and_or_b32 v9, v12, s17, v11
	v_cmp_ne_u32_e32 vcc, 0, v9
	v_cndmask_b32_e64 v9, 0, 1, vcc
	v_lshrrev_b32_e32 v10, 8, v12
	v_bfe_u32 v11, v12, 20, 11
	v_and_or_b32 v9, v10, s14, v9
	v_sub_u32_e32 v15, 0x3f1, v11
	v_or_b32_e32 v10, 0x1000, v9
	v_med3_i32 v15, v15, 0, 13
	v_lshrrev_b32_e32 v17, v15, v10
	v_lshlrev_b32_e32 v15, v15, v17
	v_cmp_ne_u32_e32 vcc, v15, v10
	v_cndmask_b32_e64 v10, 0, 1, vcc
	v_add_u32_e32 v11, 0xfffffc10, v11
	v_or_b32_e32 v10, v17, v10
	v_lshl_or_b32 v15, v11, 12, v9
	v_cmp_gt_i32_e32 vcc, 1, v11
	v_cndmask_b32_e32 v10, v15, v10, vcc
	v_and_b32_e32 v15, 7, v10
	v_cmp_lt_i32_e32 vcc, 5, v15
	v_cmp_eq_u32_e64 s[2:3], 3, v15
	v_lshrrev_b32_e32 v10, 2, v10
	s_or_b64 vcc, s[2:3], vcc
	v_addc_co_u32_e32 v10, vcc, 0, v10, vcc
	v_cmp_gt_i32_e32 vcc, 31, v11
	v_lshrrev_b32_e32 v17, 16, v14
	v_cndmask_b32_e32 v15, v2, v10, vcc
	v_mul_f16_sdwa v10, v124, v17 dst_sel:DWORD dst_unused:UNUSED_PAD src0_sel:WORD_1 src1_sel:DWORD
	v_fma_f16 v10, v124, v14, v10
	v_cvt_f32_f16_e32 v10, v10
	v_cmp_ne_u32_e32 vcc, 0, v9
	v_cndmask_b32_e64 v9, 0, 1, vcc
	v_lshl_or_b32 v18, v9, 9, v2
	v_cvt_f64_f32_e32 v[9:10], v10
	v_cmp_eq_u32_e32 vcc, s15, v11
	v_cndmask_b32_e32 v11, v15, v18, vcc
	v_lshrrev_b32_e32 v12, 16, v12
	v_mul_f64 v[9:10], v[9:10], s[6:7]
	v_add_co_u32_e32 v7, vcc, s4, v7
	v_and_or_b32 v11, v12, s16, v11
	v_and_b32_e32 v12, 0xffff, v13
	v_addc_co_u32_e32 v8, vcc, v8, v5, vcc
	v_lshl_or_b32 v11, v11, 16, v12
	v_and_or_b32 v9, v10, s17, v9
	v_cmp_ne_u32_e32 vcc, 0, v9
	global_store_dword v[7:8], v11, off
	v_cndmask_b32_e64 v9, 0, 1, vcc
	v_lshrrev_b32_e32 v11, 8, v10
	v_bfe_u32 v12, v10, 20, 11
	v_and_or_b32 v9, v11, s14, v9
	v_sub_u32_e32 v13, 0x3f1, v12
	v_or_b32_e32 v11, 0x1000, v9
	v_med3_i32 v13, v13, 0, 13
	v_lshrrev_b32_e32 v15, v13, v11
	v_lshlrev_b32_e32 v13, v13, v15
	v_mul_f16_sdwa v14, v124, v14 dst_sel:DWORD dst_unused:UNUSED_PAD src0_sel:WORD_1 src1_sel:DWORD
	v_cmp_ne_u32_e32 vcc, v13, v11
	v_fma_f16 v14, v124, v17, -v14
	v_cndmask_b32_e64 v11, 0, 1, vcc
	v_add_u32_e32 v13, 0xfffffc10, v12
	v_cvt_f32_f16_e32 v14, v14
	v_or_b32_e32 v11, v15, v11
	v_lshl_or_b32 v12, v13, 12, v9
	v_cmp_gt_i32_e32 vcc, 1, v13
	v_cndmask_b32_e32 v11, v12, v11, vcc
	v_and_b32_e32 v12, 7, v11
	v_cmp_lt_i32_e32 vcc, 5, v12
	v_cmp_eq_u32_e64 s[2:3], 3, v12
	v_lshrrev_b32_e32 v15, 2, v11
	v_cvt_f64_f32_e32 v[11:12], v14
	s_or_b64 vcc, s[2:3], vcc
	v_addc_co_u32_e32 v14, vcc, 0, v15, vcc
	v_mul_f64 v[11:12], v[11:12], s[6:7]
	v_cmp_gt_i32_e32 vcc, 31, v13
	v_cndmask_b32_e32 v14, v2, v14, vcc
	v_cmp_ne_u32_e32 vcc, 0, v9
	v_cndmask_b32_e64 v9, 0, 1, vcc
	v_lshl_or_b32 v9, v9, 9, v2
	v_cmp_eq_u32_e32 vcc, s15, v13
	v_cndmask_b32_e32 v9, v14, v9, vcc
	v_lshrrev_b32_e32 v10, 16, v10
	v_and_or_b32 v13, v10, s16, v9
	v_and_or_b32 v9, v12, s17, v11
	v_cmp_ne_u32_e32 vcc, 0, v9
	v_cndmask_b32_e64 v9, 0, 1, vcc
	v_lshrrev_b32_e32 v10, 8, v12
	v_bfe_u32 v11, v12, 20, 11
	v_and_or_b32 v9, v10, s14, v9
	v_sub_u32_e32 v14, 0x3f1, v11
	v_or_b32_e32 v10, 0x1000, v9
	v_med3_i32 v14, v14, 0, 13
	v_lshrrev_b32_e32 v15, v14, v10
	v_lshlrev_b32_e32 v14, v14, v15
	v_cmp_ne_u32_e32 vcc, v14, v10
	v_cndmask_b32_e64 v10, 0, 1, vcc
	v_add_u32_e32 v11, 0xfffffc10, v11
	v_or_b32_e32 v10, v15, v10
	v_lshl_or_b32 v14, v11, 12, v9
	v_cmp_gt_i32_e32 vcc, 1, v11
	v_cndmask_b32_e32 v10, v14, v10, vcc
	v_and_b32_e32 v14, 7, v10
	v_cmp_lt_i32_e32 vcc, 5, v14
	v_cmp_eq_u32_e64 s[2:3], 3, v14
	v_lshrrev_b32_e32 v10, 2, v10
	s_or_b64 vcc, s[2:3], vcc
	v_addc_co_u32_e32 v10, vcc, 0, v10, vcc
	v_cmp_gt_i32_e32 vcc, 31, v11
	v_lshrrev_b32_e32 v15, 16, v16
	v_cndmask_b32_e32 v14, v2, v10, vcc
	v_mul_f16_sdwa v10, v122, v15 dst_sel:DWORD dst_unused:UNUSED_PAD src0_sel:WORD_1 src1_sel:DWORD
	v_fma_f16 v10, v122, v16, v10
	v_cvt_f32_f16_e32 v10, v10
	v_cmp_ne_u32_e32 vcc, 0, v9
	v_cndmask_b32_e64 v9, 0, 1, vcc
	v_lshl_or_b32 v17, v9, 9, v2
	v_cvt_f64_f32_e32 v[9:10], v10
	v_cmp_eq_u32_e32 vcc, s15, v11
	v_cndmask_b32_e32 v11, v14, v17, vcc
	v_lshrrev_b32_e32 v12, 16, v12
	v_mul_f64 v[9:10], v[9:10], s[6:7]
	v_add_co_u32_e32 v7, vcc, s10, v7
	v_and_or_b32 v11, v12, s16, v11
	v_and_b32_e32 v12, 0xffff, v13
	v_addc_co_u32_e32 v8, vcc, v8, v4, vcc
	v_lshl_or_b32 v11, v11, 16, v12
	v_and_or_b32 v9, v10, s17, v9
	v_cmp_ne_u32_e32 vcc, 0, v9
	global_store_dword v[7:8], v11, off
	v_cndmask_b32_e64 v9, 0, 1, vcc
	v_lshrrev_b32_e32 v11, 8, v10
	v_bfe_u32 v12, v10, 20, 11
	v_and_or_b32 v9, v11, s14, v9
	v_sub_u32_e32 v13, 0x3f1, v12
	v_or_b32_e32 v11, 0x1000, v9
	v_med3_i32 v13, v13, 0, 13
	v_lshrrev_b32_e32 v14, v13, v11
	v_lshlrev_b32_e32 v13, v13, v14
	v_cmp_ne_u32_e32 vcc, v13, v11
	v_cndmask_b32_e64 v11, 0, 1, vcc
	v_or_b32_e32 v11, v14, v11
	v_mul_f16_sdwa v14, v122, v16 dst_sel:DWORD dst_unused:UNUSED_PAD src0_sel:WORD_1 src1_sel:DWORD
	v_fma_f16 v14, v122, v15, -v14
	v_add_u32_e32 v13, 0xfffffc10, v12
	v_cvt_f32_f16_e32 v14, v14
	v_lshl_or_b32 v12, v13, 12, v9
	v_cmp_gt_i32_e32 vcc, 1, v13
	v_cndmask_b32_e32 v11, v12, v11, vcc
	v_and_b32_e32 v12, 7, v11
	v_cmp_lt_i32_e32 vcc, 5, v12
	v_cmp_eq_u32_e64 s[2:3], 3, v12
	v_lshrrev_b32_e32 v15, 2, v11
	v_cvt_f64_f32_e32 v[11:12], v14
	s_or_b64 vcc, s[2:3], vcc
	v_addc_co_u32_e32 v14, vcc, 0, v15, vcc
	v_mul_f64 v[11:12], v[11:12], s[6:7]
	v_cmp_gt_i32_e32 vcc, 31, v13
	v_cndmask_b32_e32 v14, v2, v14, vcc
	v_cmp_ne_u32_e32 vcc, 0, v9
	v_cndmask_b32_e64 v9, 0, 1, vcc
	v_lshl_or_b32 v9, v9, 9, v2
	v_cmp_eq_u32_e32 vcc, s15, v13
	v_cndmask_b32_e32 v9, v14, v9, vcc
	v_lshrrev_b32_e32 v10, 16, v10
	v_and_or_b32 v15, v10, s16, v9
	v_and_or_b32 v9, v12, s17, v11
	v_cmp_ne_u32_e32 vcc, 0, v9
	v_cndmask_b32_e64 v9, 0, 1, vcc
	v_lshrrev_b32_e32 v10, 8, v12
	v_and_or_b32 v11, v10, s14, v9
	v_bfe_u32 v10, v12, 20, 11
	v_sub_u32_e32 v13, 0x3f1, v10
	v_or_b32_e32 v9, 0x1000, v11
	v_med3_i32 v13, v13, 0, 13
	v_lshrrev_b32_e32 v14, v13, v9
	v_lshlrev_b32_e32 v13, v13, v14
	v_cmp_ne_u32_e32 vcc, v13, v9
	v_cndmask_b32_e64 v9, 0, 1, vcc
	v_add_u32_e32 v16, 0xfffffc10, v10
	v_or_b32_e32 v9, v14, v9
	v_lshl_or_b32 v10, v16, 12, v11
	v_cmp_gt_i32_e32 vcc, 1, v16
	v_cndmask_b32_e32 v9, v10, v9, vcc
	v_and_b32_e32 v10, 7, v9
	v_cmp_lt_i32_e32 vcc, 5, v10
	v_cmp_eq_u32_e64 s[2:3], 3, v10
	v_lshrrev_b32_e32 v13, 2, v9
	ds_read2_b32 v[9:10], v6 offset0:124 offset1:187
	s_or_b64 vcc, s[2:3], vcc
	v_addc_co_u32_e32 v6, vcc, 0, v13, vcc
	v_cmp_gt_i32_e32 vcc, 31, v16
	s_waitcnt lgkmcnt(0)
	v_lshrrev_b32_e32 v17, 16, v9
	v_mul_f16_sdwa v13, v120, v17 dst_sel:DWORD dst_unused:UNUSED_PAD src0_sel:WORD_1 src1_sel:DWORD
	v_fma_f16 v13, v120, v9, v13
	v_cvt_f32_f16_e32 v13, v13
	v_cndmask_b32_e32 v6, v2, v6, vcc
	v_cmp_ne_u32_e32 vcc, 0, v11
	v_cndmask_b32_e64 v11, 0, 1, vcc
	v_cvt_f64_f32_e32 v[13:14], v13
	v_lshl_or_b32 v11, v11, 9, v2
	v_cmp_eq_u32_e32 vcc, s15, v16
	v_cndmask_b32_e32 v6, v6, v11, vcc
	v_lshrrev_b32_e32 v11, 16, v12
	v_and_or_b32 v6, v11, s16, v6
	v_mul_f64 v[11:12], v[13:14], s[6:7]
	v_and_b32_e32 v13, 0xffff, v15
	v_lshl_or_b32 v13, v6, 16, v13
	v_add_co_u32_e32 v6, vcc, s10, v7
	v_addc_co_u32_e32 v7, vcc, v8, v4, vcc
	global_store_dword v[6:7], v13, off
	v_and_or_b32 v8, v12, s17, v11
	v_cmp_ne_u32_e32 vcc, 0, v8
	v_cndmask_b32_e64 v8, 0, 1, vcc
	v_lshrrev_b32_e32 v11, 8, v12
	v_bfe_u32 v13, v12, 20, 11
	v_and_or_b32 v11, v11, s14, v8
	v_sub_u32_e32 v14, 0x3f1, v13
	v_or_b32_e32 v8, 0x1000, v11
	v_med3_i32 v14, v14, 0, 13
	v_lshrrev_b32_e32 v15, v14, v8
	v_lshlrev_b32_e32 v14, v14, v15
	v_mul_f16_sdwa v9, v120, v9 dst_sel:DWORD dst_unused:UNUSED_PAD src0_sel:WORD_1 src1_sel:DWORD
	v_cmp_ne_u32_e32 vcc, v14, v8
	v_fma_f16 v9, v120, v17, -v9
	v_cndmask_b32_e64 v8, 0, 1, vcc
	v_add_u32_e32 v13, 0xfffffc10, v13
	v_cvt_f32_f16_e32 v9, v9
	v_or_b32_e32 v8, v15, v8
	v_lshl_or_b32 v14, v13, 12, v11
	v_cmp_gt_i32_e32 vcc, 1, v13
	v_cndmask_b32_e32 v8, v14, v8, vcc
	v_and_b32_e32 v14, 7, v8
	v_cmp_lt_i32_e32 vcc, 5, v14
	v_cmp_eq_u32_e64 s[2:3], 3, v14
	v_lshrrev_b32_e32 v14, 2, v8
	v_cvt_f64_f32_e32 v[8:9], v9
	s_or_b64 vcc, s[2:3], vcc
	v_addc_co_u32_e32 v14, vcc, 0, v14, vcc
	v_mul_f64 v[8:9], v[8:9], s[6:7]
	v_cmp_gt_i32_e32 vcc, 31, v13
	v_cndmask_b32_e32 v14, v2, v14, vcc
	v_cmp_ne_u32_e32 vcc, 0, v11
	v_cndmask_b32_e64 v11, 0, 1, vcc
	v_lshl_or_b32 v11, v11, 9, v2
	v_cmp_eq_u32_e32 vcc, s15, v13
	v_cndmask_b32_e32 v11, v14, v11, vcc
	v_and_or_b32 v8, v9, s17, v8
	v_lshrrev_b32_e32 v12, 16, v12
	v_cmp_ne_u32_e32 vcc, 0, v8
	v_and_or_b32 v15, v12, s16, v11
	v_cndmask_b32_e64 v8, 0, 1, vcc
	v_lshrrev_b32_e32 v11, 8, v9
	v_bfe_u32 v12, v9, 20, 11
	v_and_or_b32 v8, v11, s14, v8
	v_sub_u32_e32 v13, 0x3f1, v12
	v_or_b32_e32 v11, 0x1000, v8
	v_med3_i32 v13, v13, 0, 13
	v_lshrrev_b32_e32 v14, v13, v11
	v_lshlrev_b32_e32 v13, v13, v14
	v_cmp_ne_u32_e32 vcc, v13, v11
	v_cndmask_b32_e64 v11, 0, 1, vcc
	v_add_u32_e32 v16, 0xfffffc10, v12
	v_or_b32_e32 v11, v14, v11
	v_lshl_or_b32 v12, v16, 12, v8
	v_cmp_gt_i32_e32 vcc, 1, v16
	v_cndmask_b32_e32 v11, v12, v11, vcc
	v_and_b32_e32 v12, 7, v11
	v_cmp_lt_i32_e32 vcc, 5, v12
	v_cmp_eq_u32_e64 s[2:3], 3, v12
	v_lshrrev_b32_e32 v13, 2, v11
	ds_read2_b32 v[11:12], v1 offset0:9 offset1:72
	s_or_b64 vcc, s[2:3], vcc
	v_addc_co_u32_e32 v13, vcc, 0, v13, vcc
	v_cmp_gt_i32_e32 vcc, 31, v16
	s_waitcnt lgkmcnt(0)
	v_lshrrev_b32_e32 v18, 16, v11
	v_cndmask_b32_e32 v17, v2, v13, vcc
	v_mul_f16_sdwa v13, v121, v18 dst_sel:DWORD dst_unused:UNUSED_PAD src0_sel:WORD_1 src1_sel:DWORD
	v_fma_f16 v13, v121, v11, v13
	v_cvt_f32_f16_e32 v13, v13
	v_cmp_ne_u32_e32 vcc, 0, v8
	v_cndmask_b32_e64 v8, 0, 1, vcc
	v_lshl_or_b32 v8, v8, 9, v2
	v_cvt_f64_f32_e32 v[13:14], v13
	v_cmp_eq_u32_e32 vcc, s15, v16
	v_cndmask_b32_e32 v8, v17, v8, vcc
	v_lshrrev_b32_e32 v9, 16, v9
	v_and_or_b32 v16, v9, s16, v8
	v_mul_f64 v[8:9], v[13:14], s[6:7]
	v_add_co_u32_e32 v6, vcc, s4, v6
	v_and_b32_e32 v13, 0xffff, v15
	v_addc_co_u32_e32 v7, vcc, v7, v5, vcc
	v_lshl_or_b32 v13, v16, 16, v13
	global_store_dword v[6:7], v13, off
	v_and_or_b32 v8, v9, s17, v8
	v_cmp_ne_u32_e32 vcc, 0, v8
	v_cndmask_b32_e64 v8, 0, 1, vcc
	v_lshrrev_b32_e32 v13, 8, v9
	v_bfe_u32 v14, v9, 20, 11
	v_and_or_b32 v8, v13, s14, v8
	v_sub_u32_e32 v15, 0x3f1, v14
	v_or_b32_e32 v13, 0x1000, v8
	v_med3_i32 v15, v15, 0, 13
	v_lshrrev_b32_e32 v16, v15, v13
	v_lshlrev_b32_e32 v15, v15, v16
	v_mul_f16_sdwa v11, v121, v11 dst_sel:DWORD dst_unused:UNUSED_PAD src0_sel:WORD_1 src1_sel:DWORD
	v_cmp_ne_u32_e32 vcc, v15, v13
	v_fma_f16 v11, v121, v18, -v11
	v_cndmask_b32_e64 v13, 0, 1, vcc
	v_add_u32_e32 v15, 0xfffffc10, v14
	v_cvt_f32_f16_e32 v11, v11
	v_or_b32_e32 v13, v16, v13
	v_lshl_or_b32 v14, v15, 12, v8
	v_cmp_gt_i32_e32 vcc, 1, v15
	v_cndmask_b32_e32 v13, v14, v13, vcc
	v_and_b32_e32 v14, 7, v13
	v_cmp_lt_i32_e32 vcc, 5, v14
	v_cmp_eq_u32_e64 s[2:3], 3, v14
	v_lshrrev_b32_e32 v16, 2, v13
	v_cvt_f64_f32_e32 v[13:14], v11
	s_or_b64 vcc, s[2:3], vcc
	v_addc_co_u32_e32 v11, vcc, 0, v16, vcc
	v_mul_f64 v[13:14], v[13:14], s[6:7]
	v_cmp_gt_i32_e32 vcc, 31, v15
	v_cndmask_b32_e32 v11, v2, v11, vcc
	v_cmp_ne_u32_e32 vcc, 0, v8
	v_cndmask_b32_e64 v8, 0, 1, vcc
	v_lshl_or_b32 v8, v8, 9, v2
	v_cmp_eq_u32_e32 vcc, s15, v15
	v_cndmask_b32_e32 v8, v11, v8, vcc
	v_lshrrev_b32_e32 v9, 16, v9
	v_and_or_b32 v11, v9, s16, v8
	v_and_or_b32 v8, v14, s17, v13
	v_cmp_ne_u32_e32 vcc, 0, v8
	v_cndmask_b32_e64 v8, 0, 1, vcc
	v_lshrrev_b32_e32 v9, 8, v14
	v_and_or_b32 v13, v9, s14, v8
	v_bfe_u32 v9, v14, 20, 11
	v_sub_u32_e32 v15, 0x3f1, v9
	v_or_b32_e32 v8, 0x1000, v13
	v_med3_i32 v15, v15, 0, 13
	v_lshrrev_b32_e32 v16, v15, v8
	v_lshlrev_b32_e32 v15, v15, v16
	v_cmp_ne_u32_e32 vcc, v15, v8
	v_cndmask_b32_e64 v8, 0, 1, vcc
	v_add_u32_e32 v17, 0xfffffc10, v9
	v_or_b32_e32 v8, v16, v8
	v_lshl_or_b32 v9, v17, 12, v13
	v_cmp_gt_i32_e32 vcc, 1, v17
	v_cndmask_b32_e32 v8, v9, v8, vcc
	v_and_b32_e32 v9, 7, v8
	v_cmp_lt_i32_e32 vcc, 5, v9
	v_cmp_eq_u32_e64 s[2:3], 3, v9
	v_lshrrev_b32_e32 v15, 2, v8
	ds_read2_b32 v[8:9], v0 offset0:22 offset1:85
	s_or_b64 vcc, s[2:3], vcc
	v_addc_co_u32_e32 v15, vcc, 0, v15, vcc
	v_cmp_gt_i32_e32 vcc, 31, v17
	s_waitcnt lgkmcnt(0)
	v_lshrrev_b32_e32 v19, 16, v8
	v_cndmask_b32_e32 v18, v2, v15, vcc
	v_mul_f16_sdwa v15, v119, v19 dst_sel:DWORD dst_unused:UNUSED_PAD src0_sel:WORD_1 src1_sel:DWORD
	v_fma_f16 v15, v119, v8, v15
	v_cvt_f32_f16_e32 v15, v15
	v_cmp_ne_u32_e32 vcc, 0, v13
	v_cndmask_b32_e64 v13, 0, 1, vcc
	v_lshl_or_b32 v13, v13, 9, v2
	v_cvt_f64_f32_e32 v[15:16], v15
	v_cmp_eq_u32_e32 vcc, s15, v17
	v_cndmask_b32_e32 v13, v18, v13, vcc
	v_lshrrev_b32_e32 v14, 16, v14
	v_and_or_b32 v17, v14, s16, v13
	v_mul_f64 v[13:14], v[15:16], s[6:7]
	v_and_b32_e32 v11, 0xffff, v11
	v_add_co_u32_e32 v6, vcc, s10, v6
	v_lshl_or_b32 v11, v17, 16, v11
	v_addc_co_u32_e32 v7, vcc, v7, v4, vcc
	global_store_dword v[6:7], v11, off
	v_and_or_b32 v11, v14, s17, v13
	v_cmp_ne_u32_e32 vcc, 0, v11
	v_cndmask_b32_e64 v11, 0, 1, vcc
	v_lshrrev_b32_e32 v13, 8, v14
	v_bfe_u32 v15, v14, 20, 11
	v_and_or_b32 v11, v13, s14, v11
	v_sub_u32_e32 v16, 0x3f1, v15
	v_or_b32_e32 v13, 0x1000, v11
	v_med3_i32 v16, v16, 0, 13
	v_lshrrev_b32_e32 v17, v16, v13
	v_lshlrev_b32_e32 v16, v16, v17
	v_cmp_ne_u32_e32 vcc, v16, v13
	v_mul_f16_sdwa v8, v119, v8 dst_sel:DWORD dst_unused:UNUSED_PAD src0_sel:WORD_1 src1_sel:DWORD
	v_cndmask_b32_e64 v13, 0, 1, vcc
	v_fma_f16 v8, v119, v19, -v8
	v_or_b32_e32 v13, v17, v13
	v_add_u32_e32 v17, 0xfffffc10, v15
	v_cvt_f32_f16_e32 v8, v8
	v_lshl_or_b32 v15, v17, 12, v11
	v_cmp_gt_i32_e32 vcc, 1, v17
	v_cndmask_b32_e32 v13, v15, v13, vcc
	v_and_b32_e32 v15, 7, v13
	v_cmp_lt_i32_e32 vcc, 5, v15
	v_cmp_eq_u32_e64 s[2:3], 3, v15
	v_cvt_f64_f32_e32 v[15:16], v8
	v_lshrrev_b32_e32 v13, 2, v13
	s_or_b64 vcc, s[2:3], vcc
	v_addc_co_u32_e32 v8, vcc, 0, v13, vcc
	v_mul_f64 v[15:16], v[15:16], s[6:7]
	v_cmp_gt_i32_e32 vcc, 31, v17
	v_cndmask_b32_e32 v8, v2, v8, vcc
	v_cmp_ne_u32_e32 vcc, 0, v11
	v_cndmask_b32_e64 v11, 0, 1, vcc
	v_lshl_or_b32 v11, v11, 9, v2
	v_cmp_eq_u32_e32 vcc, s15, v17
	v_cndmask_b32_e32 v8, v8, v11, vcc
	v_lshrrev_b32_e32 v11, 16, v14
	v_and_or_b32 v8, v11, s16, v8
	v_and_or_b32 v11, v16, s17, v15
	v_cmp_ne_u32_e32 vcc, 0, v11
	v_cndmask_b32_e64 v11, 0, 1, vcc
	v_lshrrev_b32_e32 v13, 8, v16
	v_bfe_u32 v14, v16, 20, 11
	v_and_or_b32 v11, v13, s14, v11
	v_sub_u32_e32 v15, 0x3f1, v14
	v_or_b32_e32 v13, 0x1000, v11
	v_med3_i32 v15, v15, 0, 13
	v_lshrrev_b32_e32 v17, v15, v13
	v_lshlrev_b32_e32 v15, v15, v17
	v_cmp_ne_u32_e32 vcc, v15, v13
	v_cndmask_b32_e64 v13, 0, 1, vcc
	v_add_u32_e32 v15, 0xfffffc10, v14
	v_or_b32_e32 v13, v17, v13
	v_lshl_or_b32 v14, v15, 12, v11
	v_cmp_gt_i32_e32 vcc, 1, v15
	v_cndmask_b32_e32 v13, v14, v13, vcc
	v_and_b32_e32 v14, 7, v13
	v_cmp_lt_i32_e32 vcc, 5, v14
	v_cmp_eq_u32_e64 s[2:3], 3, v14
	v_lshrrev_b32_e32 v13, 2, v13
	s_or_b64 vcc, s[2:3], vcc
	v_addc_co_u32_e32 v13, vcc, 0, v13, vcc
	v_cmp_gt_i32_e32 vcc, 31, v15
	v_lshrrev_b32_e32 v18, 16, v10
	v_cndmask_b32_e32 v17, v2, v13, vcc
	v_mul_f16_sdwa v13, v118, v18 dst_sel:DWORD dst_unused:UNUSED_PAD src0_sel:WORD_1 src1_sel:DWORD
	v_fma_f16 v13, v118, v10, v13
	v_cvt_f32_f16_e32 v13, v13
	v_cmp_ne_u32_e32 vcc, 0, v11
	v_cndmask_b32_e64 v11, 0, 1, vcc
	v_lshl_or_b32 v11, v11, 9, v2
	v_cvt_f64_f32_e32 v[13:14], v13
	v_cmp_eq_u32_e32 vcc, s15, v15
	v_cndmask_b32_e32 v11, v17, v11, vcc
	v_lshrrev_b32_e32 v15, 16, v16
	v_mul_f64 v[13:14], v[13:14], s[6:7]
	v_and_or_b32 v11, v15, s16, v11
	v_and_b32_e32 v8, 0xffff, v8
	v_add_co_u32_e32 v6, vcc, s10, v6
	v_lshl_or_b32 v8, v11, 16, v8
	v_addc_co_u32_e32 v7, vcc, v7, v4, vcc
	global_store_dword v[6:7], v8, off
	v_and_or_b32 v8, v14, s17, v13
	v_cmp_ne_u32_e32 vcc, 0, v8
	v_cndmask_b32_e64 v8, 0, 1, vcc
	v_lshrrev_b32_e32 v11, 8, v14
	v_bfe_u32 v13, v14, 20, 11
	v_and_or_b32 v8, v11, s14, v8
	v_sub_u32_e32 v15, 0x3f1, v13
	v_or_b32_e32 v11, 0x1000, v8
	v_med3_i32 v15, v15, 0, 13
	v_lshrrev_b32_e32 v16, v15, v11
	v_lshlrev_b32_e32 v15, v15, v16
	v_mul_f16_sdwa v10, v118, v10 dst_sel:DWORD dst_unused:UNUSED_PAD src0_sel:WORD_1 src1_sel:DWORD
	v_cmp_ne_u32_e32 vcc, v15, v11
	v_fma_f16 v10, v118, v18, -v10
	v_cndmask_b32_e64 v11, 0, 1, vcc
	v_add_u32_e32 v13, 0xfffffc10, v13
	v_cvt_f32_f16_e32 v10, v10
	v_or_b32_e32 v11, v16, v11
	v_lshl_or_b32 v15, v13, 12, v8
	v_cmp_gt_i32_e32 vcc, 1, v13
	v_cndmask_b32_e32 v11, v15, v11, vcc
	v_and_b32_e32 v15, 7, v11
	v_cmp_lt_i32_e32 vcc, 5, v15
	v_cmp_eq_u32_e64 s[2:3], 3, v15
	v_lshrrev_b32_e32 v15, 2, v11
	v_cvt_f64_f32_e32 v[10:11], v10
	s_or_b64 vcc, s[2:3], vcc
	v_addc_co_u32_e32 v15, vcc, 0, v15, vcc
	v_mul_f64 v[10:11], v[10:11], s[6:7]
	v_cmp_gt_i32_e32 vcc, 31, v13
	v_cndmask_b32_e32 v15, v2, v15, vcc
	v_cmp_ne_u32_e32 vcc, 0, v8
	v_cndmask_b32_e64 v8, 0, 1, vcc
	v_lshl_or_b32 v8, v8, 9, v2
	v_cmp_eq_u32_e32 vcc, s15, v13
	v_cndmask_b32_e32 v8, v15, v8, vcc
	v_and_or_b32 v10, v11, s17, v10
	v_lshrrev_b32_e32 v13, 16, v14
	v_cmp_ne_u32_e32 vcc, 0, v10
	v_and_or_b32 v8, v13, s16, v8
	v_cndmask_b32_e64 v10, 0, 1, vcc
	v_lshrrev_b32_e32 v13, 8, v11
	v_bfe_u32 v14, v11, 20, 11
	v_and_or_b32 v10, v13, s14, v10
	v_sub_u32_e32 v15, 0x3f1, v14
	v_or_b32_e32 v13, 0x1000, v10
	v_med3_i32 v15, v15, 0, 13
	v_lshrrev_b32_e32 v16, v15, v13
	v_lshlrev_b32_e32 v15, v15, v16
	v_cmp_ne_u32_e32 vcc, v15, v13
	v_cndmask_b32_e64 v13, 0, 1, vcc
	v_add_u32_e32 v15, 0xfffffc10, v14
	v_or_b32_e32 v13, v16, v13
	v_lshl_or_b32 v14, v15, 12, v10
	v_cmp_gt_i32_e32 vcc, 1, v15
	v_cndmask_b32_e32 v13, v14, v13, vcc
	v_and_b32_e32 v14, 7, v13
	v_cmp_lt_i32_e32 vcc, 5, v14
	v_cmp_eq_u32_e64 s[2:3], 3, v14
	v_lshrrev_b32_e32 v13, 2, v13
	s_or_b64 vcc, s[2:3], vcc
	v_addc_co_u32_e32 v13, vcc, 0, v13, vcc
	v_cmp_gt_i32_e32 vcc, 31, v15
	v_lshrrev_b32_e32 v17, 16, v12
	v_cndmask_b32_e32 v16, v2, v13, vcc
	v_mul_f16_sdwa v13, v117, v17 dst_sel:DWORD dst_unused:UNUSED_PAD src0_sel:WORD_1 src1_sel:DWORD
	v_fma_f16 v13, v117, v12, v13
	v_cvt_f32_f16_e32 v13, v13
	v_cmp_ne_u32_e32 vcc, 0, v10
	v_cndmask_b32_e64 v10, 0, 1, vcc
	v_lshl_or_b32 v10, v10, 9, v2
	v_cvt_f64_f32_e32 v[13:14], v13
	v_cmp_eq_u32_e32 vcc, s15, v15
	v_cndmask_b32_e32 v10, v16, v10, vcc
	v_lshrrev_b32_e32 v11, 16, v11
	v_and_or_b32 v15, v11, s16, v10
	v_mul_f64 v[10:11], v[13:14], s[6:7]
	v_and_b32_e32 v8, 0xffff, v8
	v_add_co_u32_e32 v6, vcc, s4, v6
	v_lshl_or_b32 v8, v15, 16, v8
	v_addc_co_u32_e32 v7, vcc, v7, v5, vcc
	global_store_dword v[6:7], v8, off
	v_and_or_b32 v8, v11, s17, v10
	v_cmp_ne_u32_e32 vcc, 0, v8
	v_cndmask_b32_e64 v8, 0, 1, vcc
	v_lshrrev_b32_e32 v10, 8, v11
	v_bfe_u32 v13, v11, 20, 11
	v_and_or_b32 v8, v10, s14, v8
	v_sub_u32_e32 v14, 0x3f1, v13
	v_or_b32_e32 v10, 0x1000, v8
	v_med3_i32 v14, v14, 0, 13
	v_lshrrev_b32_e32 v15, v14, v10
	v_lshlrev_b32_e32 v14, v14, v15
	v_mul_f16_sdwa v12, v117, v12 dst_sel:DWORD dst_unused:UNUSED_PAD src0_sel:WORD_1 src1_sel:DWORD
	v_cmp_ne_u32_e32 vcc, v14, v10
	v_fma_f16 v12, v117, v17, -v12
	v_cndmask_b32_e64 v10, 0, 1, vcc
	v_add_u32_e32 v14, 0xfffffc10, v13
	v_cvt_f32_f16_e32 v12, v12
	v_or_b32_e32 v10, v15, v10
	v_lshl_or_b32 v13, v14, 12, v8
	v_cmp_gt_i32_e32 vcc, 1, v14
	v_cndmask_b32_e32 v10, v13, v10, vcc
	v_and_b32_e32 v13, 7, v10
	v_cmp_lt_i32_e32 vcc, 5, v13
	v_cmp_eq_u32_e64 s[2:3], 3, v13
	v_cvt_f64_f32_e32 v[12:13], v12
	v_lshrrev_b32_e32 v10, 2, v10
	s_or_b64 vcc, s[2:3], vcc
	v_addc_co_u32_e32 v10, vcc, 0, v10, vcc
	v_mul_f64 v[12:13], v[12:13], s[6:7]
	v_cmp_gt_i32_e32 vcc, 31, v14
	v_cndmask_b32_e32 v10, v2, v10, vcc
	v_cmp_ne_u32_e32 vcc, 0, v8
	v_cndmask_b32_e64 v8, 0, 1, vcc
	v_lshl_or_b32 v8, v8, 9, v2
	v_cmp_eq_u32_e32 vcc, s15, v14
	v_cndmask_b32_e32 v8, v10, v8, vcc
	v_lshrrev_b32_e32 v10, 16, v11
	v_and_or_b32 v8, v10, s16, v8
	v_and_or_b32 v10, v13, s17, v12
	v_cmp_ne_u32_e32 vcc, 0, v10
	v_cndmask_b32_e64 v10, 0, 1, vcc
	v_lshrrev_b32_e32 v11, 8, v13
	v_bfe_u32 v12, v13, 20, 11
	v_and_or_b32 v10, v11, s14, v10
	v_sub_u32_e32 v14, 0x3f1, v12
	v_or_b32_e32 v11, 0x1000, v10
	v_med3_i32 v14, v14, 0, 13
	v_lshrrev_b32_e32 v15, v14, v11
	v_lshlrev_b32_e32 v14, v14, v15
	v_cmp_ne_u32_e32 vcc, v14, v11
	v_cndmask_b32_e64 v11, 0, 1, vcc
	v_add_u32_e32 v12, 0xfffffc10, v12
	v_or_b32_e32 v11, v15, v11
	v_lshl_or_b32 v14, v12, 12, v10
	v_cmp_gt_i32_e32 vcc, 1, v12
	v_cndmask_b32_e32 v11, v14, v11, vcc
	v_and_b32_e32 v14, 7, v11
	v_cmp_lt_i32_e32 vcc, 5, v14
	v_cmp_eq_u32_e64 s[2:3], 3, v14
	v_lshrrev_b32_e32 v11, 2, v11
	s_or_b64 vcc, s[2:3], vcc
	v_addc_co_u32_e32 v11, vcc, 0, v11, vcc
	v_cmp_gt_i32_e32 vcc, 31, v12
	v_lshrrev_b32_e32 v15, 16, v9
	v_cndmask_b32_e32 v14, v2, v11, vcc
	v_mul_f16_sdwa v11, v116, v15 dst_sel:DWORD dst_unused:UNUSED_PAD src0_sel:WORD_1 src1_sel:DWORD
	v_fma_f16 v11, v116, v9, v11
	v_cvt_f32_f16_e32 v11, v11
	v_cmp_ne_u32_e32 vcc, 0, v10
	v_cndmask_b32_e64 v10, 0, 1, vcc
	v_lshl_or_b32 v16, v10, 9, v2
	v_cvt_f64_f32_e32 v[10:11], v11
	v_cmp_eq_u32_e32 vcc, s15, v12
	v_cndmask_b32_e32 v12, v14, v16, vcc
	v_lshrrev_b32_e32 v13, 16, v13
	v_mul_f64 v[10:11], v[10:11], s[6:7]
	v_and_or_b32 v12, v13, s16, v12
	v_and_b32_e32 v8, 0xffff, v8
	v_add_co_u32_e32 v6, vcc, s10, v6
	v_lshl_or_b32 v8, v12, 16, v8
	v_addc_co_u32_e32 v7, vcc, v7, v4, vcc
	global_store_dword v[6:7], v8, off
	v_and_or_b32 v8, v11, s17, v10
	v_cmp_ne_u32_e32 vcc, 0, v8
	v_cndmask_b32_e64 v8, 0, 1, vcc
	v_lshrrev_b32_e32 v10, 8, v11
	v_bfe_u32 v12, v11, 20, 11
	v_and_or_b32 v10, v10, s14, v8
	v_sub_u32_e32 v13, 0x3f1, v12
	v_or_b32_e32 v8, 0x1000, v10
	v_med3_i32 v13, v13, 0, 13
	v_lshrrev_b32_e32 v14, v13, v8
	v_lshlrev_b32_e32 v13, v13, v14
	v_mul_f16_sdwa v9, v116, v9 dst_sel:DWORD dst_unused:UNUSED_PAD src0_sel:WORD_1 src1_sel:DWORD
	v_cmp_ne_u32_e32 vcc, v13, v8
	v_fma_f16 v9, v116, v15, -v9
	v_cndmask_b32_e64 v8, 0, 1, vcc
	v_add_u32_e32 v12, 0xfffffc10, v12
	v_cvt_f32_f16_e32 v9, v9
	v_or_b32_e32 v8, v14, v8
	v_lshl_or_b32 v13, v12, 12, v10
	v_cmp_gt_i32_e32 vcc, 1, v12
	v_cndmask_b32_e32 v8, v13, v8, vcc
	v_and_b32_e32 v13, 7, v8
	v_cmp_lt_i32_e32 vcc, 5, v13
	v_cmp_eq_u32_e64 s[2:3], 3, v13
	v_lshrrev_b32_e32 v13, 2, v8
	v_cvt_f64_f32_e32 v[8:9], v9
	s_or_b64 vcc, s[2:3], vcc
	v_addc_co_u32_e32 v13, vcc, 0, v13, vcc
	v_mul_f64 v[8:9], v[8:9], s[6:7]
	v_cmp_gt_i32_e32 vcc, 31, v12
	v_cndmask_b32_e32 v13, v2, v13, vcc
	v_cmp_ne_u32_e32 vcc, 0, v10
	v_cndmask_b32_e64 v10, 0, 1, vcc
	v_lshl_or_b32 v10, v10, 9, v2
	v_cmp_eq_u32_e32 vcc, s15, v12
	v_cndmask_b32_e32 v10, v13, v10, vcc
	v_and_or_b32 v8, v9, s17, v8
	v_lshrrev_b32_e32 v11, 16, v11
	v_cmp_ne_u32_e32 vcc, 0, v8
	v_and_or_b32 v14, v11, s16, v10
	v_cndmask_b32_e64 v8, 0, 1, vcc
	v_lshrrev_b32_e32 v10, 8, v9
	v_bfe_u32 v11, v9, 20, 11
	v_and_or_b32 v8, v10, s14, v8
	v_sub_u32_e32 v12, 0x3f1, v11
	v_or_b32_e32 v10, 0x1000, v8
	v_med3_i32 v12, v12, 0, 13
	v_lshrrev_b32_e32 v13, v12, v10
	v_lshlrev_b32_e32 v12, v12, v13
	v_cmp_ne_u32_e32 vcc, v12, v10
	v_cndmask_b32_e64 v10, 0, 1, vcc
	v_add_u32_e32 v15, 0xfffffc10, v11
	v_or_b32_e32 v10, v13, v10
	v_lshl_or_b32 v11, v15, 12, v8
	v_cmp_gt_i32_e32 vcc, 1, v15
	v_cndmask_b32_e32 v10, v11, v10, vcc
	v_and_b32_e32 v11, 7, v10
	v_cmp_lt_i32_e32 vcc, 5, v11
	v_cmp_eq_u32_e64 s[2:3], 3, v11
	v_lshrrev_b32_e32 v12, 2, v10
	ds_read2_b32 v[10:11], v3 offset0:122 offset1:185
	s_or_b64 vcc, s[2:3], vcc
	v_addc_co_u32_e32 v3, vcc, 0, v12, vcc
	v_cmp_gt_i32_e32 vcc, 31, v15
	s_waitcnt lgkmcnt(0)
	v_lshrrev_b32_e32 v16, 16, v10
	v_mul_f16_sdwa v12, v115, v16 dst_sel:DWORD dst_unused:UNUSED_PAD src0_sel:WORD_1 src1_sel:DWORD
	v_fma_f16 v12, v115, v10, v12
	v_cvt_f32_f16_e32 v12, v12
	v_cndmask_b32_e32 v3, v2, v3, vcc
	v_cmp_ne_u32_e32 vcc, 0, v8
	v_cndmask_b32_e64 v8, 0, 1, vcc
	v_cvt_f64_f32_e32 v[12:13], v12
	v_lshl_or_b32 v8, v8, 9, v2
	v_cmp_eq_u32_e32 vcc, s15, v15
	v_cndmask_b32_e32 v3, v3, v8, vcc
	v_lshrrev_b32_e32 v8, 16, v9
	v_and_or_b32 v3, v8, s16, v3
	v_mul_f64 v[8:9], v[12:13], s[6:7]
	v_and_b32_e32 v12, 0xffff, v14
	v_add_co_u32_e32 v6, vcc, s10, v6
	v_lshl_or_b32 v3, v3, 16, v12
	v_addc_co_u32_e32 v7, vcc, v7, v4, vcc
	global_store_dword v[6:7], v3, off
	v_and_or_b32 v3, v9, s17, v8
	v_cmp_ne_u32_e32 vcc, 0, v3
	v_cndmask_b32_e64 v3, 0, 1, vcc
	v_lshrrev_b32_e32 v8, 8, v9
	v_bfe_u32 v12, v9, 20, 11
	v_and_or_b32 v3, v8, s14, v3
	v_sub_u32_e32 v13, 0x3f1, v12
	v_or_b32_e32 v8, 0x1000, v3
	v_med3_i32 v13, v13, 0, 13
	v_lshrrev_b32_e32 v14, v13, v8
	v_lshlrev_b32_e32 v13, v13, v14
	v_cmp_ne_u32_e32 vcc, v13, v8
	v_mul_f16_sdwa v10, v115, v10 dst_sel:DWORD dst_unused:UNUSED_PAD src0_sel:WORD_1 src1_sel:DWORD
	v_cndmask_b32_e64 v8, 0, 1, vcc
	v_fma_f16 v10, v115, v16, -v10
	v_or_b32_e32 v8, v14, v8
	v_add_u32_e32 v14, 0xfffffc10, v12
	v_cvt_f32_f16_e32 v10, v10
	v_lshl_or_b32 v12, v14, 12, v3
	v_cmp_gt_i32_e32 vcc, 1, v14
	v_cndmask_b32_e32 v8, v12, v8, vcc
	v_and_b32_e32 v12, 7, v8
	v_cmp_lt_i32_e32 vcc, 5, v12
	v_cmp_eq_u32_e64 s[2:3], 3, v12
	v_cvt_f64_f32_e32 v[12:13], v10
	v_lshrrev_b32_e32 v8, 2, v8
	s_or_b64 vcc, s[2:3], vcc
	v_addc_co_u32_e32 v8, vcc, 0, v8, vcc
	v_mul_f64 v[12:13], v[12:13], s[6:7]
	v_cmp_gt_i32_e32 vcc, 31, v14
	v_cndmask_b32_e32 v8, v2, v8, vcc
	v_cmp_ne_u32_e32 vcc, 0, v3
	v_cndmask_b32_e64 v3, 0, 1, vcc
	v_lshl_or_b32 v3, v3, 9, v2
	v_cmp_eq_u32_e32 vcc, s15, v14
	v_cndmask_b32_e32 v3, v8, v3, vcc
	v_lshrrev_b32_e32 v8, 16, v9
	v_and_or_b32 v3, v8, s16, v3
	v_and_or_b32 v8, v13, s17, v12
	v_cmp_ne_u32_e32 vcc, 0, v8
	v_cndmask_b32_e64 v8, 0, 1, vcc
	v_lshrrev_b32_e32 v9, 8, v13
	v_and_or_b32 v10, v9, s14, v8
	v_bfe_u32 v9, v13, 20, 11
	v_sub_u32_e32 v12, 0x3f1, v9
	v_or_b32_e32 v8, 0x1000, v10
	v_med3_i32 v12, v12, 0, 13
	v_lshrrev_b32_e32 v14, v12, v8
	v_lshlrev_b32_e32 v12, v12, v14
	v_cmp_ne_u32_e32 vcc, v12, v8
	v_cndmask_b32_e64 v8, 0, 1, vcc
	v_add_u32_e32 v12, 0xfffffc10, v9
	v_or_b32_e32 v8, v14, v8
	v_lshl_or_b32 v9, v12, 12, v10
	v_cmp_gt_i32_e32 vcc, 1, v12
	v_cndmask_b32_e32 v8, v9, v8, vcc
	v_and_b32_e32 v9, 7, v8
	v_cmp_lt_i32_e32 vcc, 5, v9
	v_cmp_eq_u32_e64 s[2:3], 3, v9
	v_lshrrev_b32_e32 v14, 2, v8
	ds_read2_b32 v[8:9], v1 offset0:135 offset1:198
	s_or_b64 vcc, s[2:3], vcc
	v_addc_co_u32_e32 v1, vcc, 0, v14, vcc
	v_cmp_gt_i32_e32 vcc, 31, v12
	s_waitcnt lgkmcnt(0)
	v_lshrrev_b32_e32 v16, 16, v8
	v_mul_f16_sdwa v14, v114, v16 dst_sel:DWORD dst_unused:UNUSED_PAD src0_sel:WORD_1 src1_sel:DWORD
	v_fma_f16 v14, v114, v8, v14
	v_cvt_f32_f16_e32 v14, v14
	v_cndmask_b32_e32 v1, v2, v1, vcc
	v_cmp_ne_u32_e32 vcc, 0, v10
	v_cndmask_b32_e64 v10, 0, 1, vcc
	v_cvt_f64_f32_e32 v[14:15], v14
	v_lshl_or_b32 v10, v10, 9, v2
	v_cmp_eq_u32_e32 vcc, s15, v12
	v_cndmask_b32_e32 v1, v1, v10, vcc
	v_lshrrev_b32_e32 v10, 16, v13
	v_mul_f64 v[12:13], v[14:15], s[6:7]
	v_and_or_b32 v1, v10, s16, v1
	v_and_b32_e32 v3, 0xffff, v3
	v_add_co_u32_e32 v6, vcc, s4, v6
	v_lshl_or_b32 v1, v1, 16, v3
	v_addc_co_u32_e32 v7, vcc, v7, v5, vcc
	global_store_dword v[6:7], v1, off
	v_and_or_b32 v1, v13, s17, v12
	v_cmp_ne_u32_e32 vcc, 0, v1
	v_cndmask_b32_e64 v1, 0, 1, vcc
	v_lshrrev_b32_e32 v3, 8, v13
	v_bfe_u32 v10, v13, 20, 11
	v_and_or_b32 v1, v3, s14, v1
	v_sub_u32_e32 v12, 0x3f1, v10
	v_mul_f16_sdwa v8, v114, v8 dst_sel:DWORD dst_unused:UNUSED_PAD src0_sel:WORD_1 src1_sel:DWORD
	v_or_b32_e32 v3, 0x1000, v1
	v_med3_i32 v12, v12, 0, 13
	v_fma_f16 v8, v114, v16, -v8
	v_lshrrev_b32_e32 v14, v12, v3
	v_cvt_f32_f16_e32 v8, v8
	v_lshlrev_b32_e32 v12, v12, v14
	v_cmp_ne_u32_e32 vcc, v12, v3
	v_cndmask_b32_e64 v3, 0, 1, vcc
	v_or_b32_e32 v3, v14, v3
	v_add_u32_e32 v10, 0xfffffc10, v10
	v_cvt_f64_f32_e32 v[14:15], v8
	v_lshl_or_b32 v12, v10, 12, v1
	v_cmp_gt_i32_e32 vcc, 1, v10
	v_cndmask_b32_e32 v3, v12, v3, vcc
	v_and_b32_e32 v12, 7, v3
	v_cmp_lt_i32_e32 vcc, 5, v12
	v_cmp_eq_u32_e64 s[2:3], 3, v12
	v_mul_f64 v[14:15], v[14:15], s[6:7]
	v_lshrrev_b32_e32 v3, 2, v3
	s_or_b64 vcc, s[2:3], vcc
	v_addc_co_u32_e32 v3, vcc, 0, v3, vcc
	v_cmp_gt_i32_e32 vcc, 31, v10
	v_cndmask_b32_e32 v3, v2, v3, vcc
	v_cmp_ne_u32_e32 vcc, 0, v1
	v_cndmask_b32_e64 v1, 0, 1, vcc
	v_lshl_or_b32 v1, v1, 9, v2
	v_cmp_eq_u32_e32 vcc, s15, v10
	v_cndmask_b32_e32 v1, v3, v1, vcc
	v_lshrrev_b32_e32 v3, 16, v13
	v_and_or_b32 v3, v3, s16, v1
	v_and_or_b32 v1, v15, s17, v14
	v_cmp_ne_u32_e32 vcc, 0, v1
	v_cndmask_b32_e64 v1, 0, 1, vcc
	v_lshrrev_b32_e32 v8, 8, v15
	v_bfe_u32 v10, v15, 20, 11
	v_and_or_b32 v8, v8, s14, v1
	v_sub_u32_e32 v12, 0x3f1, v10
	v_or_b32_e32 v1, 0x1000, v8
	v_med3_i32 v12, v12, 0, 13
	v_lshrrev_b32_e32 v13, v12, v1
	v_lshlrev_b32_e32 v12, v12, v13
	v_cmp_ne_u32_e32 vcc, v12, v1
	v_cndmask_b32_e64 v1, 0, 1, vcc
	v_add_u32_e32 v10, 0xfffffc10, v10
	v_or_b32_e32 v1, v13, v1
	v_lshl_or_b32 v12, v10, 12, v8
	v_cmp_gt_i32_e32 vcc, 1, v10
	v_cndmask_b32_e32 v1, v12, v1, vcc
	v_and_b32_e32 v12, 7, v1
	v_cmp_lt_i32_e32 vcc, 5, v12
	v_cmp_eq_u32_e64 s[2:3], 3, v12
	v_lshrrev_b32_e32 v12, 2, v1
	ds_read2_b32 v[0:1], v0 offset0:148 offset1:211
	s_or_b64 vcc, s[2:3], vcc
	v_addc_co_u32_e32 v12, vcc, 0, v12, vcc
	v_cmp_gt_i32_e32 vcc, 31, v10
	s_waitcnt lgkmcnt(0)
	v_lshrrev_b32_e32 v16, 16, v0
	v_cndmask_b32_e32 v14, v2, v12, vcc
	v_mul_f16_sdwa v12, v113, v16 dst_sel:DWORD dst_unused:UNUSED_PAD src0_sel:WORD_1 src1_sel:DWORD
	v_fma_f16 v12, v113, v0, v12
	v_cvt_f32_f16_e32 v12, v12
	v_cmp_ne_u32_e32 vcc, 0, v8
	v_cndmask_b32_e64 v8, 0, 1, vcc
	v_lshl_or_b32 v8, v8, 9, v2
	v_cvt_f64_f32_e32 v[12:13], v12
	v_cmp_eq_u32_e32 vcc, s15, v10
	v_cndmask_b32_e32 v8, v14, v8, vcc
	v_lshrrev_b32_e32 v10, 16, v15
	v_mul_f64 v[12:13], v[12:13], s[6:7]
	v_and_or_b32 v8, v10, s16, v8
	v_and_b32_e32 v3, 0xffff, v3
	v_add_co_u32_e32 v6, vcc, s10, v6
	v_lshl_or_b32 v3, v8, 16, v3
	v_addc_co_u32_e32 v7, vcc, v7, v4, vcc
	global_store_dword v[6:7], v3, off
	v_and_or_b32 v3, v13, s17, v12
	v_cmp_ne_u32_e32 vcc, 0, v3
	v_cndmask_b32_e64 v3, 0, 1, vcc
	v_lshrrev_b32_e32 v8, 8, v13
	v_bfe_u32 v10, v13, 20, 11
	v_and_or_b32 v3, v8, s14, v3
	v_sub_u32_e32 v12, 0x3f1, v10
	v_mul_f16_sdwa v0, v113, v0 dst_sel:DWORD dst_unused:UNUSED_PAD src0_sel:WORD_1 src1_sel:DWORD
	v_or_b32_e32 v8, 0x1000, v3
	v_med3_i32 v12, v12, 0, 13
	v_fma_f16 v0, v113, v16, -v0
	v_lshrrev_b32_e32 v14, v12, v8
	v_cvt_f32_f16_e32 v0, v0
	v_lshlrev_b32_e32 v12, v12, v14
	v_cmp_ne_u32_e32 vcc, v12, v8
	v_cndmask_b32_e64 v8, 0, 1, vcc
	v_or_b32_e32 v8, v14, v8
	v_add_u32_e32 v10, 0xfffffc10, v10
	v_cvt_f64_f32_e32 v[14:15], v0
	v_lshl_or_b32 v12, v10, 12, v3
	v_cmp_gt_i32_e32 vcc, 1, v10
	v_cndmask_b32_e32 v8, v12, v8, vcc
	v_and_b32_e32 v12, 7, v8
	v_cmp_lt_i32_e32 vcc, 5, v12
	v_cmp_eq_u32_e64 s[2:3], 3, v12
	v_mul_f64 v[14:15], v[14:15], s[6:7]
	v_lshrrev_b32_e32 v8, 2, v8
	s_or_b64 vcc, s[2:3], vcc
	v_addc_co_u32_e32 v0, vcc, 0, v8, vcc
	v_cmp_gt_i32_e32 vcc, 31, v10
	v_cndmask_b32_e32 v0, v2, v0, vcc
	v_cmp_ne_u32_e32 vcc, 0, v3
	v_cndmask_b32_e64 v3, 0, 1, vcc
	v_lshl_or_b32 v3, v3, 9, v2
	v_cmp_eq_u32_e32 vcc, s15, v10
	v_cndmask_b32_e32 v0, v0, v3, vcc
	v_lshrrev_b32_e32 v3, 16, v13
	v_and_or_b32 v0, v3, s16, v0
	v_and_or_b32 v3, v15, s17, v14
	v_cmp_ne_u32_e32 vcc, 0, v3
	v_cndmask_b32_e64 v3, 0, 1, vcc
	v_lshrrev_b32_e32 v8, 8, v15
	v_bfe_u32 v10, v15, 20, 11
	v_and_or_b32 v3, v8, s14, v3
	v_sub_u32_e32 v12, 0x3f1, v10
	v_or_b32_e32 v8, 0x1000, v3
	v_med3_i32 v12, v12, 0, 13
	v_lshrrev_b32_e32 v13, v12, v8
	v_lshlrev_b32_e32 v12, v12, v13
	v_cmp_ne_u32_e32 vcc, v12, v8
	v_cndmask_b32_e64 v8, 0, 1, vcc
	v_add_u32_e32 v10, 0xfffffc10, v10
	v_or_b32_e32 v8, v13, v8
	v_lshl_or_b32 v12, v10, 12, v3
	v_cmp_gt_i32_e32 vcc, 1, v10
	v_cndmask_b32_e32 v8, v12, v8, vcc
	v_and_b32_e32 v12, 7, v8
	v_lshrrev_b32_e32 v14, 16, v11
	v_cmp_lt_i32_e32 vcc, 5, v12
	v_cmp_eq_u32_e64 s[2:3], 3, v12
	v_mul_f16_sdwa v12, v112, v14 dst_sel:DWORD dst_unused:UNUSED_PAD src0_sel:WORD_1 src1_sel:DWORD
	v_fma_f16 v12, v112, v11, v12
	v_cvt_f32_f16_e32 v12, v12
	v_lshrrev_b32_e32 v8, 2, v8
	s_or_b64 vcc, s[2:3], vcc
	v_addc_co_u32_e32 v8, vcc, 0, v8, vcc
	v_cvt_f64_f32_e32 v[12:13], v12
	v_cmp_gt_i32_e32 vcc, 31, v10
	v_cndmask_b32_e32 v8, v2, v8, vcc
	v_cmp_ne_u32_e32 vcc, 0, v3
	v_mul_f64 v[12:13], v[12:13], s[6:7]
	v_cndmask_b32_e64 v3, 0, 1, vcc
	v_lshl_or_b32 v3, v3, 9, v2
	v_cmp_eq_u32_e32 vcc, s15, v10
	v_cndmask_b32_e32 v3, v8, v3, vcc
	v_lshrrev_b32_e32 v8, 16, v15
	v_and_or_b32 v3, v8, s16, v3
	v_and_b32_e32 v0, 0xffff, v0
	v_add_co_u32_e32 v6, vcc, s10, v6
	v_lshl_or_b32 v0, v3, 16, v0
	v_addc_co_u32_e32 v7, vcc, v7, v4, vcc
	global_store_dword v[6:7], v0, off
	v_and_or_b32 v0, v13, s17, v12
	v_cmp_ne_u32_e32 vcc, 0, v0
	v_cndmask_b32_e64 v0, 0, 1, vcc
	v_lshrrev_b32_e32 v3, 8, v13
	v_bfe_u32 v8, v13, 20, 11
	v_and_or_b32 v0, v3, s14, v0
	v_sub_u32_e32 v10, 0x3f1, v8
	v_or_b32_e32 v3, 0x1000, v0
	v_med3_i32 v10, v10, 0, 13
	v_lshrrev_b32_e32 v12, v10, v3
	v_lshlrev_b32_e32 v10, v10, v12
	v_mul_f16_sdwa v11, v112, v11 dst_sel:DWORD dst_unused:UNUSED_PAD src0_sel:WORD_1 src1_sel:DWORD
	v_cmp_ne_u32_e32 vcc, v10, v3
	v_fma_f16 v11, v112, v14, -v11
	v_cndmask_b32_e64 v3, 0, 1, vcc
	v_add_u32_e32 v8, 0xfffffc10, v8
	v_cvt_f32_f16_e32 v11, v11
	v_or_b32_e32 v3, v12, v3
	v_lshl_or_b32 v10, v8, 12, v0
	v_cmp_gt_i32_e32 vcc, 1, v8
	v_cndmask_b32_e32 v3, v10, v3, vcc
	v_and_b32_e32 v10, 7, v3
	v_cmp_lt_i32_e32 vcc, 5, v10
	v_cmp_eq_u32_e64 s[2:3], 3, v10
	v_cvt_f64_f32_e32 v[10:11], v11
	v_lshrrev_b32_e32 v3, 2, v3
	s_or_b64 vcc, s[2:3], vcc
	v_addc_co_u32_e32 v3, vcc, 0, v3, vcc
	v_mul_f64 v[10:11], v[10:11], s[6:7]
	v_cmp_gt_i32_e32 vcc, 31, v8
	v_cndmask_b32_e32 v3, v2, v3, vcc
	v_cmp_ne_u32_e32 vcc, 0, v0
	v_cndmask_b32_e64 v0, 0, 1, vcc
	v_lshl_or_b32 v0, v0, 9, v2
	v_cmp_eq_u32_e32 vcc, s15, v8
	v_cndmask_b32_e32 v0, v3, v0, vcc
	v_lshrrev_b32_e32 v3, 16, v13
	v_and_or_b32 v0, v3, s16, v0
	v_and_or_b32 v3, v11, s17, v10
	v_cmp_ne_u32_e32 vcc, 0, v3
	v_cndmask_b32_e64 v3, 0, 1, vcc
	v_lshrrev_b32_e32 v8, 8, v11
	v_bfe_u32 v10, v11, 20, 11
	v_and_or_b32 v3, v8, s14, v3
	v_sub_u32_e32 v12, 0x3f1, v10
	v_or_b32_e32 v8, 0x1000, v3
	v_med3_i32 v12, v12, 0, 13
	v_lshrrev_b32_e32 v13, v12, v8
	v_lshlrev_b32_e32 v12, v12, v13
	v_cmp_ne_u32_e32 vcc, v12, v8
	v_cndmask_b32_e64 v8, 0, 1, vcc
	v_add_u32_e32 v10, 0xfffffc10, v10
	v_or_b32_e32 v8, v13, v8
	v_lshl_or_b32 v12, v10, 12, v3
	v_cmp_gt_i32_e32 vcc, 1, v10
	v_cndmask_b32_e32 v8, v12, v8, vcc
	v_and_b32_e32 v12, 7, v8
	v_lshrrev_b32_e32 v14, 16, v9
	v_cmp_lt_i32_e32 vcc, 5, v12
	v_cmp_eq_u32_e64 s[2:3], 3, v12
	v_mul_f16_sdwa v12, v111, v14 dst_sel:DWORD dst_unused:UNUSED_PAD src0_sel:WORD_1 src1_sel:DWORD
	v_fma_f16 v12, v111, v9, v12
	v_cvt_f32_f16_e32 v12, v12
	v_lshrrev_b32_e32 v8, 2, v8
	s_or_b64 vcc, s[2:3], vcc
	v_addc_co_u32_e32 v8, vcc, 0, v8, vcc
	v_cmp_gt_i32_e32 vcc, 31, v10
	v_cvt_f64_f32_e32 v[12:13], v12
	v_cndmask_b32_e32 v8, v2, v8, vcc
	v_cmp_ne_u32_e32 vcc, 0, v3
	v_cndmask_b32_e64 v3, 0, 1, vcc
	v_lshl_or_b32 v3, v3, 9, v2
	v_cmp_eq_u32_e32 vcc, s15, v10
	v_cndmask_b32_e32 v3, v8, v3, vcc
	v_lshrrev_b32_e32 v8, 16, v11
	v_mul_f64 v[10:11], v[12:13], s[6:7]
	v_and_or_b32 v3, v8, s16, v3
	v_and_b32_e32 v0, 0xffff, v0
	v_add_co_u32_e32 v6, vcc, s4, v6
	v_lshl_or_b32 v0, v3, 16, v0
	v_addc_co_u32_e32 v7, vcc, v7, v5, vcc
	global_store_dword v[6:7], v0, off
	v_and_or_b32 v0, v11, s17, v10
	v_cmp_ne_u32_e32 vcc, 0, v0
	v_cndmask_b32_e64 v0, 0, 1, vcc
	v_lshrrev_b32_e32 v3, 8, v11
	v_bfe_u32 v5, v11, 20, 11
	v_and_or_b32 v0, v3, s14, v0
	v_sub_u32_e32 v8, 0x3f1, v5
	v_or_b32_e32 v3, 0x1000, v0
	v_med3_i32 v8, v8, 0, 13
	v_lshrrev_b32_e32 v10, v8, v3
	v_lshlrev_b32_e32 v8, v8, v10
	v_mul_f16_sdwa v9, v111, v9 dst_sel:DWORD dst_unused:UNUSED_PAD src0_sel:WORD_1 src1_sel:DWORD
	v_cmp_ne_u32_e32 vcc, v8, v3
	v_fma_f16 v9, v111, v14, -v9
	v_cndmask_b32_e64 v3, 0, 1, vcc
	v_add_u32_e32 v5, 0xfffffc10, v5
	v_cvt_f32_f16_e32 v9, v9
	v_or_b32_e32 v3, v10, v3
	v_lshl_or_b32 v8, v5, 12, v0
	v_cmp_gt_i32_e32 vcc, 1, v5
	v_cndmask_b32_e32 v3, v8, v3, vcc
	v_and_b32_e32 v8, 7, v3
	v_cmp_lt_i32_e32 vcc, 5, v8
	v_cmp_eq_u32_e64 s[2:3], 3, v8
	v_cvt_f64_f32_e32 v[8:9], v9
	v_lshrrev_b32_e32 v3, 2, v3
	s_or_b64 vcc, s[2:3], vcc
	v_addc_co_u32_e32 v3, vcc, 0, v3, vcc
	v_mul_f64 v[8:9], v[8:9], s[6:7]
	v_cmp_gt_i32_e32 vcc, 31, v5
	v_cndmask_b32_e32 v3, v2, v3, vcc
	v_cmp_ne_u32_e32 vcc, 0, v0
	v_cndmask_b32_e64 v0, 0, 1, vcc
	v_lshl_or_b32 v0, v0, 9, v2
	v_cmp_eq_u32_e32 vcc, s15, v5
	v_cndmask_b32_e32 v0, v3, v0, vcc
	v_lshrrev_b32_e32 v3, 16, v11
	v_and_or_b32 v0, v3, s16, v0
	v_and_or_b32 v3, v9, s17, v8
	v_cmp_ne_u32_e32 vcc, 0, v3
	v_cndmask_b32_e64 v3, 0, 1, vcc
	v_lshrrev_b32_e32 v5, 8, v9
	v_bfe_u32 v8, v9, 20, 11
	v_and_or_b32 v3, v5, s14, v3
	v_sub_u32_e32 v10, 0x3f1, v8
	v_or_b32_e32 v5, 0x1000, v3
	v_med3_i32 v10, v10, 0, 13
	v_lshrrev_b32_e32 v11, v10, v5
	v_lshlrev_b32_e32 v10, v10, v11
	v_cmp_ne_u32_e32 vcc, v10, v5
	v_cndmask_b32_e64 v5, 0, 1, vcc
	v_add_u32_e32 v8, 0xfffffc10, v8
	v_or_b32_e32 v5, v11, v5
	v_lshl_or_b32 v10, v8, 12, v3
	v_cmp_gt_i32_e32 vcc, 1, v8
	v_cndmask_b32_e32 v5, v10, v5, vcc
	v_and_b32_e32 v10, 7, v5
	v_lshrrev_b32_e32 v12, 16, v1
	v_cmp_lt_i32_e32 vcc, 5, v10
	v_cmp_eq_u32_e64 s[2:3], 3, v10
	v_mul_f16_sdwa v10, v110, v12 dst_sel:DWORD dst_unused:UNUSED_PAD src0_sel:WORD_1 src1_sel:DWORD
	v_fma_f16 v10, v110, v1, v10
	v_cvt_f32_f16_e32 v10, v10
	v_lshrrev_b32_e32 v5, 2, v5
	s_or_b64 vcc, s[2:3], vcc
	v_addc_co_u32_e32 v5, vcc, 0, v5, vcc
	v_cmp_gt_i32_e32 vcc, 31, v8
	v_cvt_f64_f32_e32 v[10:11], v10
	v_cndmask_b32_e32 v5, v2, v5, vcc
	v_cmp_ne_u32_e32 vcc, 0, v3
	v_cndmask_b32_e64 v3, 0, 1, vcc
	v_lshl_or_b32 v3, v3, 9, v2
	v_cmp_eq_u32_e32 vcc, s15, v8
	v_cndmask_b32_e32 v3, v5, v3, vcc
	v_lshrrev_b32_e32 v5, 16, v9
	v_mul_f64 v[8:9], v[10:11], s[6:7]
	v_and_or_b32 v3, v5, s16, v3
	v_and_b32_e32 v0, 0xffff, v0
	v_add_co_u32_e32 v5, vcc, s10, v6
	v_lshl_or_b32 v0, v3, 16, v0
	v_addc_co_u32_e32 v6, vcc, v7, v4, vcc
	global_store_dword v[5:6], v0, off
	v_and_or_b32 v0, v9, s17, v8
	v_cmp_ne_u32_e32 vcc, 0, v0
	v_cndmask_b32_e64 v0, 0, 1, vcc
	v_lshrrev_b32_e32 v3, 8, v9
	v_bfe_u32 v7, v9, 20, 11
	v_and_or_b32 v3, v3, s14, v0
	v_sub_u32_e32 v8, 0x3f1, v7
	v_or_b32_e32 v0, 0x1000, v3
	v_med3_i32 v8, v8, 0, 13
	v_lshrrev_b32_e32 v10, v8, v0
	v_lshlrev_b32_e32 v8, v8, v10
	v_mul_f16_sdwa v1, v110, v1 dst_sel:DWORD dst_unused:UNUSED_PAD src0_sel:WORD_1 src1_sel:DWORD
	v_cmp_ne_u32_e32 vcc, v8, v0
	v_fma_f16 v1, v110, v12, -v1
	v_cndmask_b32_e64 v0, 0, 1, vcc
	v_add_u32_e32 v7, 0xfffffc10, v7
	v_cvt_f32_f16_e32 v1, v1
	v_or_b32_e32 v0, v10, v0
	v_lshl_or_b32 v8, v7, 12, v3
	v_cmp_gt_i32_e32 vcc, 1, v7
	v_cndmask_b32_e32 v0, v8, v0, vcc
	v_and_b32_e32 v8, 7, v0
	v_cmp_lt_i32_e32 vcc, 5, v8
	v_cmp_eq_u32_e64 s[2:3], 3, v8
	v_lshrrev_b32_e32 v8, 2, v0
	v_cvt_f64_f32_e32 v[0:1], v1
	s_or_b64 vcc, s[2:3], vcc
	v_addc_co_u32_e32 v8, vcc, 0, v8, vcc
	v_mul_f64 v[0:1], v[0:1], s[6:7]
	v_cmp_gt_i32_e32 vcc, 31, v7
	v_cndmask_b32_e32 v8, v2, v8, vcc
	v_cmp_ne_u32_e32 vcc, 0, v3
	v_cndmask_b32_e64 v3, 0, 1, vcc
	v_lshl_or_b32 v3, v3, 9, v2
	v_cmp_eq_u32_e32 vcc, s15, v7
	v_cndmask_b32_e32 v3, v8, v3, vcc
	v_and_or_b32 v0, v1, s17, v0
	v_lshrrev_b32_e32 v7, 16, v9
	v_cmp_ne_u32_e32 vcc, 0, v0
	v_and_or_b32 v3, v7, s16, v3
	v_cndmask_b32_e64 v0, 0, 1, vcc
	v_lshrrev_b32_e32 v7, 8, v1
	v_bfe_u32 v8, v1, 20, 11
	v_and_or_b32 v0, v7, s14, v0
	v_sub_u32_e32 v9, 0x3f1, v8
	v_or_b32_e32 v7, 0x1000, v0
	v_med3_i32 v9, v9, 0, 13
	v_lshrrev_b32_e32 v10, v9, v7
	v_lshlrev_b32_e32 v9, v9, v10
	v_cmp_ne_u32_e32 vcc, v9, v7
	v_cndmask_b32_e64 v7, 0, 1, vcc
	v_add_u32_e32 v8, 0xfffffc10, v8
	v_or_b32_e32 v7, v10, v7
	v_lshl_or_b32 v9, v8, 12, v0
	v_cmp_gt_i32_e32 vcc, 1, v8
	v_cndmask_b32_e32 v7, v9, v7, vcc
	v_and_b32_e32 v9, 7, v7
	v_cmp_lt_i32_e32 vcc, 5, v9
	v_cmp_eq_u32_e64 s[2:3], 3, v9
	v_lshrrev_b32_e32 v7, 2, v7
	s_or_b64 vcc, s[2:3], vcc
	v_addc_co_u32_e32 v7, vcc, 0, v7, vcc
	v_cmp_gt_i32_e32 vcc, 31, v8
	v_cndmask_b32_e32 v7, v2, v7, vcc
	v_cmp_ne_u32_e32 vcc, 0, v0
	v_cndmask_b32_e64 v0, 0, 1, vcc
	v_lshl_or_b32 v0, v0, 9, v2
	v_cmp_eq_u32_e32 vcc, s15, v8
	v_cndmask_b32_e32 v0, v7, v0, vcc
	v_lshrrev_b32_e32 v1, 16, v1
	v_and_or_b32 v0, v1, s16, v0
	v_and_b32_e32 v1, 0xffff, v3
	v_lshl_or_b32 v3, v0, 16, v1
	v_add_co_u32_e32 v0, vcc, s10, v5
	v_addc_co_u32_e32 v1, vcc, v6, v4, vcc
	global_store_dword v[0:1], v3, off
	s_and_b64 exec, exec, s[0:1]
	s_cbranch_execz .LBB0_31
; %bb.30:
	global_load_dword v3, v[56:57], off offset:2016
	ds_read_b32 v4, v109 offset:2016
	ds_read_b32 v9, v109 offset:4116
	;; [unrolled: 1-line block ×3, first 2 shown]
	v_add_co_u32_e32 v7, vcc, s18, v56
	s_waitcnt lgkmcnt(2)
	v_lshrrev_b32_e32 v5, 16, v4
	v_addc_co_u32_e32 v8, vcc, 0, v57, vcc
	v_mov_b32_e32 v11, s5
	v_add_co_u32_e32 v0, vcc, s4, v0
	v_addc_co_u32_e32 v1, vcc, v1, v11, vcc
	s_waitcnt vmcnt(0)
	v_mul_f16_sdwa v6, v5, v3 dst_sel:DWORD dst_unused:UNUSED_PAD src0_sel:DWORD src1_sel:WORD_1
	v_fma_f16 v6, v4, v3, v6
	v_mul_f16_sdwa v4, v4, v3 dst_sel:DWORD dst_unused:UNUSED_PAD src0_sel:DWORD src1_sel:WORD_1
	v_cvt_f32_f16_e32 v6, v6
	v_fma_f16 v3, v3, v5, -v4
	v_cvt_f32_f16_e32 v5, v3
	v_cvt_f64_f32_e32 v[3:4], v6
	v_cvt_f64_f32_e32 v[5:6], v5
	v_mul_f64 v[3:4], v[3:4], s[6:7]
	v_mul_f64 v[5:6], v[5:6], s[6:7]
	v_and_or_b32 v3, v4, s17, v3
	v_cmp_ne_u32_e32 vcc, 0, v3
	v_and_or_b32 v5, v6, s17, v5
	v_lshrrev_b32_e32 v11, 8, v4
	v_bfe_u32 v12, v4, 20, 11
	v_cndmask_b32_e64 v3, 0, 1, vcc
	v_cmp_ne_u32_e32 vcc, 0, v5
	v_lshrrev_b32_e32 v13, 8, v6
	v_bfe_u32 v14, v6, 20, 11
	v_sub_u32_e32 v15, 0x3f1, v12
	v_cndmask_b32_e64 v5, 0, 1, vcc
	v_and_or_b32 v3, v11, s14, v3
	v_sub_u32_e32 v16, 0x3f1, v14
	v_med3_i32 v11, v15, 0, 13
	v_and_or_b32 v5, v13, s14, v5
	v_or_b32_e32 v15, 0x1000, v3
	v_add_u32_e32 v12, 0xfffffc10, v12
	v_med3_i32 v13, v16, 0, 13
	v_cmp_ne_u32_e32 vcc, 0, v3
	v_or_b32_e32 v17, 0x1000, v5
	v_lshrrev_b32_e32 v19, v11, v15
	v_add_u32_e32 v14, 0xfffffc10, v14
	v_lshl_or_b32 v16, v12, 12, v3
	v_cndmask_b32_e64 v3, 0, 1, vcc
	v_cmp_ne_u32_e32 vcc, 0, v5
	v_lshrrev_b32_e32 v20, v13, v17
	v_lshlrev_b32_e32 v11, v11, v19
	v_lshl_or_b32 v18, v14, 12, v5
	v_cndmask_b32_e64 v5, 0, 1, vcc
	v_lshlrev_b32_e32 v13, v13, v20
	v_cmp_ne_u32_e32 vcc, v11, v15
	v_cndmask_b32_e64 v11, 0, 1, vcc
	v_cmp_ne_u32_e32 vcc, v13, v17
	v_cndmask_b32_e64 v13, 0, 1, vcc
	v_or_b32_e32 v11, v19, v11
	v_cmp_gt_i32_e32 vcc, 1, v12
	v_cndmask_b32_e32 v11, v16, v11, vcc
	v_or_b32_e32 v13, v20, v13
	v_cmp_gt_i32_e32 vcc, 1, v14
	v_and_b32_e32 v15, 7, v11
	v_cndmask_b32_e32 v13, v18, v13, vcc
	v_cmp_lt_i32_e32 vcc, 5, v15
	v_cmp_eq_u32_e64 s[0:1], 3, v15
	v_lshrrev_b32_e32 v11, 2, v11
	v_and_b32_e32 v16, 7, v13
	s_or_b64 vcc, s[0:1], vcc
	v_cmp_lt_i32_e64 s[2:3], 5, v16
	v_cmp_eq_u32_e64 s[4:5], 3, v16
	v_addc_co_u32_e32 v11, vcc, 0, v11, vcc
	v_lshrrev_b32_e32 v13, 2, v13
	s_or_b64 vcc, s[4:5], s[2:3]
	v_addc_co_u32_e32 v13, vcc, 0, v13, vcc
	v_cmp_gt_i32_e32 vcc, 31, v12
	v_cndmask_b32_e32 v11, v2, v11, vcc
	v_cmp_gt_i32_e32 vcc, 31, v14
	v_lshl_or_b32 v3, v3, 9, v2
	v_cndmask_b32_e32 v13, v2, v13, vcc
	v_cmp_eq_u32_e32 vcc, s15, v12
	v_lshrrev_b32_e32 v4, 16, v4
	v_lshl_or_b32 v5, v5, 9, v2
	v_cndmask_b32_e32 v3, v11, v3, vcc
	v_cmp_eq_u32_e32 vcc, s15, v14
	v_lshrrev_b32_e32 v6, 16, v6
	v_cndmask_b32_e32 v5, v13, v5, vcc
	v_and_or_b32 v3, v4, s16, v3
	v_and_or_b32 v4, v6, s16, v5
	v_and_b32_e32 v3, 0xffff, v3
	v_lshl_or_b32 v3, v4, 16, v3
	global_store_dword v[0:1], v3, off
	global_load_dword v3, v[7:8], off offset:20
	s_waitcnt lgkmcnt(1)
	v_lshrrev_b32_e32 v4, 16, v9
	v_add_co_u32_e32 v0, vcc, s10, v0
	s_waitcnt vmcnt(0)
	v_mul_f16_sdwa v5, v4, v3 dst_sel:DWORD dst_unused:UNUSED_PAD src0_sel:DWORD src1_sel:WORD_1
	v_fma_f16 v5, v9, v3, v5
	v_mul_f16_sdwa v6, v9, v3 dst_sel:DWORD dst_unused:UNUSED_PAD src0_sel:DWORD src1_sel:WORD_1
	v_cvt_f32_f16_e32 v5, v5
	v_fma_f16 v3, v3, v4, -v6
	v_cvt_f32_f16_e32 v6, v3
	v_mov_b32_e32 v9, s11
	v_cvt_f64_f32_e32 v[3:4], v5
	v_addc_co_u32_e32 v1, vcc, v1, v9, vcc
	v_cvt_f64_f32_e32 v[5:6], v6
	v_mul_f64 v[3:4], v[3:4], s[6:7]
	v_mul_f64 v[5:6], v[5:6], s[6:7]
	v_and_or_b32 v3, v4, s17, v3
	v_cmp_ne_u32_e32 vcc, 0, v3
	v_lshrrev_b32_e32 v11, 8, v4
	v_and_or_b32 v5, v6, s17, v5
	v_bfe_u32 v12, v4, 20, 11
	v_cndmask_b32_e64 v3, 0, 1, vcc
	v_cmp_ne_u32_e32 vcc, 0, v5
	v_lshrrev_b32_e32 v13, 8, v6
	v_bfe_u32 v14, v6, 20, 11
	v_sub_u32_e32 v15, 0x3f1, v12
	v_cndmask_b32_e64 v5, 0, 1, vcc
	v_and_or_b32 v3, v11, s14, v3
	v_sub_u32_e32 v16, 0x3f1, v14
	v_med3_i32 v11, v15, 0, 13
	v_and_or_b32 v5, v13, s14, v5
	v_or_b32_e32 v15, 0x1000, v3
	v_add_u32_e32 v12, 0xfffffc10, v12
	v_med3_i32 v13, v16, 0, 13
	v_cmp_ne_u32_e32 vcc, 0, v3
	v_or_b32_e32 v17, 0x1000, v5
	v_lshrrev_b32_e32 v19, v11, v15
	v_add_u32_e32 v14, 0xfffffc10, v14
	v_lshl_or_b32 v16, v12, 12, v3
	v_cndmask_b32_e64 v3, 0, 1, vcc
	v_cmp_ne_u32_e32 vcc, 0, v5
	v_lshrrev_b32_e32 v20, v13, v17
	v_lshlrev_b32_e32 v11, v11, v19
	v_lshl_or_b32 v18, v14, 12, v5
	v_cndmask_b32_e64 v5, 0, 1, vcc
	v_lshlrev_b32_e32 v13, v13, v20
	v_cmp_ne_u32_e32 vcc, v11, v15
	v_cndmask_b32_e64 v11, 0, 1, vcc
	v_cmp_ne_u32_e32 vcc, v13, v17
	v_cndmask_b32_e64 v13, 0, 1, vcc
	v_or_b32_e32 v11, v19, v11
	v_cmp_gt_i32_e32 vcc, 1, v12
	v_cndmask_b32_e32 v11, v16, v11, vcc
	v_or_b32_e32 v13, v20, v13
	v_cmp_gt_i32_e32 vcc, 1, v14
	v_and_b32_e32 v15, 7, v11
	v_cndmask_b32_e32 v13, v18, v13, vcc
	v_cmp_lt_i32_e32 vcc, 5, v15
	v_cmp_eq_u32_e64 s[0:1], 3, v15
	v_lshrrev_b32_e32 v11, 2, v11
	v_and_b32_e32 v16, 7, v13
	s_or_b64 vcc, s[0:1], vcc
	v_cmp_lt_i32_e64 s[2:3], 5, v16
	v_cmp_eq_u32_e64 s[4:5], 3, v16
	v_addc_co_u32_e32 v11, vcc, 0, v11, vcc
	v_lshrrev_b32_e32 v13, 2, v13
	s_or_b64 vcc, s[4:5], s[2:3]
	v_addc_co_u32_e32 v13, vcc, 0, v13, vcc
	v_cmp_gt_i32_e32 vcc, 31, v12
	v_cndmask_b32_e32 v11, v2, v11, vcc
	v_cmp_gt_i32_e32 vcc, 31, v14
	v_lshl_or_b32 v3, v3, 9, v2
	v_cndmask_b32_e32 v13, v2, v13, vcc
	v_cmp_eq_u32_e32 vcc, s15, v12
	v_lshrrev_b32_e32 v4, 16, v4
	v_lshl_or_b32 v5, v5, 9, v2
	v_cndmask_b32_e32 v3, v11, v3, vcc
	v_cmp_eq_u32_e32 vcc, s15, v14
	v_lshrrev_b32_e32 v6, 16, v6
	v_cndmask_b32_e32 v5, v13, v5, vcc
	v_and_or_b32 v3, v4, s16, v3
	v_and_or_b32 v4, v6, s16, v5
	v_and_b32_e32 v3, 0xffff, v3
	v_lshl_or_b32 v3, v4, 16, v3
	global_store_dword v[0:1], v3, off
	global_load_dword v3, v[7:8], off offset:2120
	s_waitcnt lgkmcnt(0)
	v_lshrrev_b32_e32 v4, 16, v10
	s_waitcnt vmcnt(0)
	v_mul_f16_sdwa v5, v4, v3 dst_sel:DWORD dst_unused:UNUSED_PAD src0_sel:DWORD src1_sel:WORD_1
	v_fma_f16 v5, v10, v3, v5
	v_mul_f16_sdwa v6, v10, v3 dst_sel:DWORD dst_unused:UNUSED_PAD src0_sel:DWORD src1_sel:WORD_1
	v_cvt_f32_f16_e32 v5, v5
	v_fma_f16 v3, v3, v4, -v6
	v_cvt_f32_f16_e32 v6, v3
	v_cvt_f64_f32_e32 v[3:4], v5
	v_cvt_f64_f32_e32 v[5:6], v6
	v_mul_f64 v[3:4], v[3:4], s[6:7]
	v_mul_f64 v[5:6], v[5:6], s[6:7]
	v_and_or_b32 v3, v4, s17, v3
	v_cmp_ne_u32_e32 vcc, 0, v3
	v_and_or_b32 v5, v6, s17, v5
	v_lshrrev_b32_e32 v7, 8, v4
	v_bfe_u32 v8, v4, 20, 11
	v_cndmask_b32_e64 v3, 0, 1, vcc
	v_cmp_ne_u32_e32 vcc, 0, v5
	v_lshrrev_b32_e32 v10, 8, v6
	v_bfe_u32 v11, v6, 20, 11
	v_sub_u32_e32 v12, 0x3f1, v8
	v_cndmask_b32_e64 v5, 0, 1, vcc
	v_and_or_b32 v3, v7, s14, v3
	v_sub_u32_e32 v13, 0x3f1, v11
	v_med3_i32 v7, v12, 0, 13
	v_and_or_b32 v5, v10, s14, v5
	v_or_b32_e32 v12, 0x1000, v3
	v_add_u32_e32 v8, 0xfffffc10, v8
	v_med3_i32 v10, v13, 0, 13
	v_cmp_ne_u32_e32 vcc, 0, v3
	v_or_b32_e32 v14, 0x1000, v5
	v_lshrrev_b32_e32 v16, v7, v12
	v_add_u32_e32 v11, 0xfffffc10, v11
	v_lshl_or_b32 v13, v8, 12, v3
	v_cndmask_b32_e64 v3, 0, 1, vcc
	v_cmp_ne_u32_e32 vcc, 0, v5
	v_lshrrev_b32_e32 v17, v10, v14
	v_lshlrev_b32_e32 v7, v7, v16
	v_lshl_or_b32 v15, v11, 12, v5
	v_cndmask_b32_e64 v5, 0, 1, vcc
	v_lshlrev_b32_e32 v10, v10, v17
	v_cmp_ne_u32_e32 vcc, v7, v12
	v_cndmask_b32_e64 v7, 0, 1, vcc
	v_cmp_ne_u32_e32 vcc, v10, v14
	v_cndmask_b32_e64 v10, 0, 1, vcc
	v_or_b32_e32 v7, v16, v7
	v_cmp_gt_i32_e32 vcc, 1, v8
	v_cndmask_b32_e32 v7, v13, v7, vcc
	v_or_b32_e32 v10, v17, v10
	v_cmp_gt_i32_e32 vcc, 1, v11
	v_and_b32_e32 v12, 7, v7
	v_cndmask_b32_e32 v10, v15, v10, vcc
	v_cmp_lt_i32_e32 vcc, 5, v12
	v_cmp_eq_u32_e64 s[0:1], 3, v12
	v_lshrrev_b32_e32 v7, 2, v7
	v_and_b32_e32 v13, 7, v10
	s_or_b64 vcc, s[0:1], vcc
	v_cmp_lt_i32_e64 s[2:3], 5, v13
	v_cmp_eq_u32_e64 s[4:5], 3, v13
	v_addc_co_u32_e32 v7, vcc, 0, v7, vcc
	v_lshrrev_b32_e32 v10, 2, v10
	s_or_b64 vcc, s[4:5], s[2:3]
	v_addc_co_u32_e32 v10, vcc, 0, v10, vcc
	v_cmp_gt_i32_e32 vcc, 31, v8
	v_cndmask_b32_e32 v7, v2, v7, vcc
	v_cmp_gt_i32_e32 vcc, 31, v11
	v_lshl_or_b32 v3, v3, 9, v2
	v_lshl_or_b32 v5, v5, 9, v2
	v_cndmask_b32_e32 v2, v2, v10, vcc
	v_cmp_eq_u32_e32 vcc, s15, v8
	v_lshrrev_b32_e32 v4, 16, v4
	v_cndmask_b32_e32 v3, v7, v3, vcc
	v_cmp_eq_u32_e32 vcc, s15, v11
	v_lshrrev_b32_e32 v6, 16, v6
	v_cndmask_b32_e32 v2, v2, v5, vcc
	v_and_or_b32 v3, v4, s16, v3
	v_and_or_b32 v2, v6, s16, v2
	v_and_b32_e32 v3, 0xffff, v3
	v_add_co_u32_e32 v0, vcc, s10, v0
	v_lshl_or_b32 v2, v2, 16, v3
	v_addc_co_u32_e32 v1, vcc, v1, v9, vcc
	global_store_dword v[0:1], v2, off
.LBB0_31:
	s_endpgm
	.section	.rodata,"a",@progbits
	.p2align	6, 0x0
	.amdhsa_kernel bluestein_single_back_len1575_dim1_half_op_CI_CI
		.amdhsa_group_segment_fixed_size 6300
		.amdhsa_private_segment_fixed_size 0
		.amdhsa_kernarg_size 104
		.amdhsa_user_sgpr_count 6
		.amdhsa_user_sgpr_private_segment_buffer 1
		.amdhsa_user_sgpr_dispatch_ptr 0
		.amdhsa_user_sgpr_queue_ptr 0
		.amdhsa_user_sgpr_kernarg_segment_ptr 1
		.amdhsa_user_sgpr_dispatch_id 0
		.amdhsa_user_sgpr_flat_scratch_init 0
		.amdhsa_user_sgpr_private_segment_size 0
		.amdhsa_uses_dynamic_stack 0
		.amdhsa_system_sgpr_private_segment_wavefront_offset 0
		.amdhsa_system_sgpr_workgroup_id_x 1
		.amdhsa_system_sgpr_workgroup_id_y 0
		.amdhsa_system_sgpr_workgroup_id_z 0
		.amdhsa_system_sgpr_workgroup_info 0
		.amdhsa_system_vgpr_workitem_id 0
		.amdhsa_next_free_vgpr 215
		.amdhsa_next_free_sgpr 23
		.amdhsa_reserve_vcc 1
		.amdhsa_reserve_flat_scratch 0
		.amdhsa_float_round_mode_32 0
		.amdhsa_float_round_mode_16_64 0
		.amdhsa_float_denorm_mode_32 3
		.amdhsa_float_denorm_mode_16_64 3
		.amdhsa_dx10_clamp 1
		.amdhsa_ieee_mode 1
		.amdhsa_fp16_overflow 0
		.amdhsa_exception_fp_ieee_invalid_op 0
		.amdhsa_exception_fp_denorm_src 0
		.amdhsa_exception_fp_ieee_div_zero 0
		.amdhsa_exception_fp_ieee_overflow 0
		.amdhsa_exception_fp_ieee_underflow 0
		.amdhsa_exception_fp_ieee_inexact 0
		.amdhsa_exception_int_div_zero 0
	.end_amdhsa_kernel
	.text
.Lfunc_end0:
	.size	bluestein_single_back_len1575_dim1_half_op_CI_CI, .Lfunc_end0-bluestein_single_back_len1575_dim1_half_op_CI_CI
                                        ; -- End function
	.section	.AMDGPU.csdata,"",@progbits
; Kernel info:
; codeLenInByte = 43868
; NumSgprs: 27
; NumVgprs: 215
; ScratchSize: 0
; MemoryBound: 0
; FloatMode: 240
; IeeeMode: 1
; LDSByteSize: 6300 bytes/workgroup (compile time only)
; SGPRBlocks: 3
; VGPRBlocks: 53
; NumSGPRsForWavesPerEU: 27
; NumVGPRsForWavesPerEU: 215
; Occupancy: 1
; WaveLimiterHint : 1
; COMPUTE_PGM_RSRC2:SCRATCH_EN: 0
; COMPUTE_PGM_RSRC2:USER_SGPR: 6
; COMPUTE_PGM_RSRC2:TRAP_HANDLER: 0
; COMPUTE_PGM_RSRC2:TGID_X_EN: 1
; COMPUTE_PGM_RSRC2:TGID_Y_EN: 0
; COMPUTE_PGM_RSRC2:TGID_Z_EN: 0
; COMPUTE_PGM_RSRC2:TIDIG_COMP_CNT: 0
	.type	__hip_cuid_95340926d90de396,@object ; @__hip_cuid_95340926d90de396
	.section	.bss,"aw",@nobits
	.globl	__hip_cuid_95340926d90de396
__hip_cuid_95340926d90de396:
	.byte	0                               ; 0x0
	.size	__hip_cuid_95340926d90de396, 1

	.ident	"AMD clang version 19.0.0git (https://github.com/RadeonOpenCompute/llvm-project roc-6.4.0 25133 c7fe45cf4b819c5991fe208aaa96edf142730f1d)"
	.section	".note.GNU-stack","",@progbits
	.addrsig
	.addrsig_sym __hip_cuid_95340926d90de396
	.amdgpu_metadata
---
amdhsa.kernels:
  - .args:
      - .actual_access:  read_only
        .address_space:  global
        .offset:         0
        .size:           8
        .value_kind:     global_buffer
      - .actual_access:  read_only
        .address_space:  global
        .offset:         8
        .size:           8
        .value_kind:     global_buffer
      - .actual_access:  read_only
        .address_space:  global
        .offset:         16
        .size:           8
        .value_kind:     global_buffer
      - .actual_access:  read_only
        .address_space:  global
        .offset:         24
        .size:           8
        .value_kind:     global_buffer
      - .actual_access:  read_only
        .address_space:  global
        .offset:         32
        .size:           8
        .value_kind:     global_buffer
      - .offset:         40
        .size:           8
        .value_kind:     by_value
      - .address_space:  global
        .offset:         48
        .size:           8
        .value_kind:     global_buffer
      - .address_space:  global
        .offset:         56
        .size:           8
        .value_kind:     global_buffer
      - .address_space:  global
        .offset:         64
        .size:           8
        .value_kind:     global_buffer
      - .address_space:  global
        .offset:         72
        .size:           8
        .value_kind:     global_buffer
      - .offset:         80
        .size:           4
        .value_kind:     by_value
      - .address_space:  global
        .offset:         88
        .size:           8
        .value_kind:     global_buffer
      - .address_space:  global
        .offset:         96
        .size:           8
        .value_kind:     global_buffer
    .group_segment_fixed_size: 6300
    .kernarg_segment_align: 8
    .kernarg_segment_size: 104
    .language:       OpenCL C
    .language_version:
      - 2
      - 0
    .max_flat_workgroup_size: 63
    .name:           bluestein_single_back_len1575_dim1_half_op_CI_CI
    .private_segment_fixed_size: 0
    .sgpr_count:     27
    .sgpr_spill_count: 0
    .symbol:         bluestein_single_back_len1575_dim1_half_op_CI_CI.kd
    .uniform_work_group_size: 1
    .uses_dynamic_stack: false
    .vgpr_count:     215
    .vgpr_spill_count: 0
    .wavefront_size: 64
amdhsa.target:   amdgcn-amd-amdhsa--gfx906
amdhsa.version:
  - 1
  - 2
...

	.end_amdgpu_metadata
